;; amdgpu-corpus repo=ROCm/rccl kind=compiled arch=gfx1250 opt=O3
	.amdgcn_target "amdgcn-amd-amdhsa--gfx1250"
	.amdhsa_code_object_version 6
	.text
	.protected	_Z10PingKernelPmS_S_    ; -- Begin function _Z10PingKernelPmS_S_
	.globl	_Z10PingKernelPmS_S_
	.p2align	8
	.type	_Z10PingKernelPmS_S_,@function
_Z10PingKernelPmS_S_:                   ; @_Z10PingKernelPmS_S_
; %bb.0:
	s_clause 0x1
	s_load_b128 s[4:7], s[0:1], 0x0
	s_load_b64 s[2:3], s[0:1], 0x10
	v_mov_b32_e32 v0, 0
	s_wait_xcnt 0x0
	s_mov_b32 s0, 1
	s_mov_b32 s1, 0
.LBB0_1:                                ; =>This Loop Header: Depth=1
                                        ;     Child Loop BB0_2 Depth 2
                                        ;     Child Loop BB0_4 Depth 2
	;; [unrolled: 1-line block ×1000, first 2 shown]
	s_delay_alu instid0(SALU_CYCLE_1)
	v_mov_b64_e32 v[2:3], s[0:1]
	s_wait_kmcnt 0x0
	global_store_b64 v0, v[2:3], s[6:7] scope:SCOPE_SYS
.LBB0_2:                                ;   Parent Loop BB0_1 Depth=1
                                        ; =>  This Inner Loop Header: Depth=2
	global_load_b64 v[2:3], v0, s[4:5] scope:SCOPE_SYS
	s_wait_loadcnt 0x0
	v_cmp_ne_u64_e32 vcc_lo, s[0:1], v[2:3]
	s_cbranch_vccnz .LBB0_2
; %bb.3:                                ;   in Loop: Header=BB0_1 Depth=1
	s_add_co_i32 s8, s0, 1
	s_mov_b32 s9, s1
	s_delay_alu instid0(SALU_CYCLE_1)
	v_mov_b64_e32 v[2:3], s[8:9]
	s_wait_xcnt 0x0
	global_store_b64 v0, v[2:3], s[6:7] scope:SCOPE_SYS
.LBB0_4:                                ;   Parent Loop BB0_1 Depth=1
                                        ; =>  This Inner Loop Header: Depth=2
	global_load_b64 v[2:3], v0, s[4:5] scope:SCOPE_SYS
	s_wait_loadcnt 0x0
	v_cmp_ne_u64_e32 vcc_lo, s[8:9], v[2:3]
	s_cbranch_vccnz .LBB0_4
; %bb.5:                                ;   in Loop: Header=BB0_1 Depth=1
	s_add_co_i32 s8, s0, 2
	s_mov_b32 s9, s1
	s_delay_alu instid0(SALU_CYCLE_1)
	v_mov_b64_e32 v[2:3], s[8:9]
	s_wait_xcnt 0x0
	;; [unrolled: 13-line block ×4, first 2 shown]
	global_store_b64 v0, v[2:3], s[6:7] scope:SCOPE_SYS
.LBB0_10:                               ;   Parent Loop BB0_1 Depth=1
                                        ; =>  This Inner Loop Header: Depth=2
	global_load_b64 v[2:3], v0, s[4:5] scope:SCOPE_SYS
	s_wait_loadcnt 0x0
	v_cmp_ne_u64_e32 vcc_lo, s[8:9], v[2:3]
	s_cbranch_vccnz .LBB0_10
; %bb.11:                               ;   in Loop: Header=BB0_1 Depth=1
	s_add_co_i32 s8, s0, 5
	s_mov_b32 s9, s1
	s_delay_alu instid0(SALU_CYCLE_1)
	v_mov_b64_e32 v[2:3], s[8:9]
	s_wait_xcnt 0x0
	global_store_b64 v0, v[2:3], s[6:7] scope:SCOPE_SYS
.LBB0_12:                               ;   Parent Loop BB0_1 Depth=1
                                        ; =>  This Inner Loop Header: Depth=2
	global_load_b64 v[2:3], v0, s[4:5] scope:SCOPE_SYS
	s_wait_loadcnt 0x0
	v_cmp_ne_u64_e32 vcc_lo, s[8:9], v[2:3]
	s_cbranch_vccnz .LBB0_12
; %bb.13:                               ;   in Loop: Header=BB0_1 Depth=1
	s_add_co_i32 s8, s0, 6
	s_mov_b32 s9, s1
	s_delay_alu instid0(SALU_CYCLE_1)
	v_mov_b64_e32 v[2:3], s[8:9]
	s_wait_xcnt 0x0
	;; [unrolled: 13-line block ×45, first 2 shown]
	global_store_b64 v0, v[2:3], s[6:7] scope:SCOPE_SYS
.LBB0_100:                              ;   Parent Loop BB0_1 Depth=1
                                        ; =>  This Inner Loop Header: Depth=2
	global_load_b64 v[2:3], v0, s[4:5] scope:SCOPE_SYS
	s_wait_loadcnt 0x0
	v_cmp_ne_u64_e32 vcc_lo, s[8:9], v[2:3]
	s_cbranch_vccnz .LBB0_100
; %bb.101:                              ;   in Loop: Header=BB0_1 Depth=1
	s_add_co_i32 s8, s0, 50
	s_mov_b32 s9, s1
	s_delay_alu instid0(SALU_CYCLE_1)
	v_mov_b64_e32 v[2:3], s[8:9]
	s_wait_xcnt 0x0
	global_store_b64 v0, v[2:3], s[6:7] scope:SCOPE_SYS
.LBB0_102:                              ;   Parent Loop BB0_1 Depth=1
                                        ; =>  This Inner Loop Header: Depth=2
	global_load_b64 v[2:3], v0, s[4:5] scope:SCOPE_SYS
	s_wait_loadcnt 0x0
	v_cmp_ne_u64_e32 vcc_lo, s[8:9], v[2:3]
	s_cbranch_vccnz .LBB0_102
; %bb.103:                              ;   in Loop: Header=BB0_1 Depth=1
	s_add_co_i32 s8, s0, 51
	s_mov_b32 s9, s1
	s_delay_alu instid0(SALU_CYCLE_1)
	v_mov_b64_e32 v[2:3], s[8:9]
	s_wait_xcnt 0x0
	;; [unrolled: 13-line block ×450, first 2 shown]
	global_store_b64 v0, v[2:3], s[6:7] scope:SCOPE_SYS
.LBB0_1000:                             ;   Parent Loop BB0_1 Depth=1
                                        ; =>  This Inner Loop Header: Depth=2
	global_load_b64 v[2:3], v0, s[4:5] scope:SCOPE_SYS
	s_wait_loadcnt 0x0
	v_cmp_ne_u64_e32 vcc_lo, s[8:9], v[2:3]
	s_cbranch_vccnz .LBB0_1000
; %bb.1001:                             ;   in Loop: Header=BB0_1 Depth=1
	s_add_co_i32 s8, s0, 0x1f4
	s_mov_b32 s9, s1
	s_delay_alu instid0(SALU_CYCLE_1)
	v_mov_b64_e32 v[2:3], s[8:9]
	s_wait_xcnt 0x0
	global_store_b64 v0, v[2:3], s[6:7] scope:SCOPE_SYS
.LBB0_1002:                             ;   Parent Loop BB0_1 Depth=1
                                        ; =>  This Inner Loop Header: Depth=2
	global_load_b64 v[2:3], v0, s[4:5] scope:SCOPE_SYS
	s_wait_loadcnt 0x0
	v_cmp_ne_u64_e32 vcc_lo, s[8:9], v[2:3]
	s_cbranch_vccnz .LBB0_1002
; %bb.1003:                             ;   in Loop: Header=BB0_1 Depth=1
	s_add_co_i32 s8, s0, 0x1f5
	s_mov_b32 s9, s1
	s_delay_alu instid0(SALU_CYCLE_1)
	v_mov_b64_e32 v[2:3], s[8:9]
	s_wait_xcnt 0x0
	;; [unrolled: 13-line block ×500, first 2 shown]
	global_store_b64 v0, v[2:3], s[6:7] scope:SCOPE_SYS
.LBB0_2000:                             ;   Parent Loop BB0_1 Depth=1
                                        ; =>  This Inner Loop Header: Depth=2
	global_load_b64 v[2:3], v0, s[4:5] scope:SCOPE_SYS
	s_wait_loadcnt 0x0
	v_cmp_ne_u64_e32 vcc_lo, s[8:9], v[2:3]
	s_cbranch_vccnz .LBB0_2000
; %bb.2001:                             ;   in Loop: Header=BB0_1 Depth=1
	s_addk_co_i32 s0, 0x3e8
	s_delay_alu instid0(SALU_CYCLE_1)
	s_cmp_eq_u32 s0, 0x7d1
	s_cbranch_scc0 .LBB0_1
; %bb.2002:
	s_wait_xcnt 0x0
	v_mov_b32_e32 v0, 0
	s_movk_i32 s8, 0x7d1
	s_sendmsg_rtn_b64 s[0:1], sendmsg(MSG_RTN_GET_REALTIME)
	s_mov_b32 s9, 0
.LBB0_2003:                             ; =>This Loop Header: Depth=1
                                        ;     Child Loop BB0_2004 Depth 2
                                        ;     Child Loop BB0_2006 Depth 2
	;; [unrolled: 1-line block ×1250, first 2 shown]
	s_delay_alu instid0(SALU_CYCLE_1)
	v_mov_b64_e32 v[2:3], s[8:9]
	global_store_b64 v0, v[2:3], s[6:7] scope:SCOPE_SYS
.LBB0_2004:                             ;   Parent Loop BB0_2003 Depth=1
                                        ; =>  This Inner Loop Header: Depth=2
	global_load_b64 v[2:3], v0, s[4:5] scope:SCOPE_SYS
	s_wait_loadcnt 0x0
	v_cmp_ne_u64_e32 vcc_lo, s[8:9], v[2:3]
	s_cbranch_vccnz .LBB0_2004
; %bb.2005:                             ;   in Loop: Header=BB0_2003 Depth=1
	s_add_co_i32 s10, s8, 1
	s_mov_b32 s11, s9
	s_delay_alu instid0(SALU_CYCLE_1)
	v_mov_b64_e32 v[2:3], s[10:11]
	s_wait_xcnt 0x0
	global_store_b64 v0, v[2:3], s[6:7] scope:SCOPE_SYS
.LBB0_2006:                             ;   Parent Loop BB0_2003 Depth=1
                                        ; =>  This Inner Loop Header: Depth=2
	global_load_b64 v[2:3], v0, s[4:5] scope:SCOPE_SYS
	s_wait_loadcnt 0x0
	v_cmp_ne_u64_e32 vcc_lo, s[10:11], v[2:3]
	s_cbranch_vccnz .LBB0_2006
; %bb.2007:                             ;   in Loop: Header=BB0_2003 Depth=1
	s_add_co_i32 s10, s8, 2
	s_mov_b32 s11, s9
	s_delay_alu instid0(SALU_CYCLE_1)
	v_mov_b64_e32 v[2:3], s[10:11]
	s_wait_xcnt 0x0
	global_store_b64 v0, v[2:3], s[6:7] scope:SCOPE_SYS
.LBB0_2008:                             ;   Parent Loop BB0_2003 Depth=1
                                        ; =>  This Inner Loop Header: Depth=2
	global_load_b64 v[2:3], v0, s[4:5] scope:SCOPE_SYS
	s_wait_loadcnt 0x0
	v_cmp_ne_u64_e32 vcc_lo, s[10:11], v[2:3]
	s_cbranch_vccnz .LBB0_2008
; %bb.2009:                             ;   in Loop: Header=BB0_2003 Depth=1
	s_add_co_i32 s10, s8, 3
	s_mov_b32 s11, s9
	s_delay_alu instid0(SALU_CYCLE_1)
	v_mov_b64_e32 v[2:3], s[10:11]
	s_wait_xcnt 0x0
	global_store_b64 v0, v[2:3], s[6:7] scope:SCOPE_SYS
.LBB0_2010:                             ;   Parent Loop BB0_2003 Depth=1
                                        ; =>  This Inner Loop Header: Depth=2
	global_load_b64 v[2:3], v0, s[4:5] scope:SCOPE_SYS
	s_wait_loadcnt 0x0
	v_cmp_ne_u64_e32 vcc_lo, s[10:11], v[2:3]
	s_cbranch_vccnz .LBB0_2010
; %bb.2011:                             ;   in Loop: Header=BB0_2003 Depth=1
	s_add_co_i32 s10, s8, 4
	s_mov_b32 s11, s9
	s_delay_alu instid0(SALU_CYCLE_1)
	v_mov_b64_e32 v[2:3], s[10:11]
	s_wait_xcnt 0x0
	global_store_b64 v0, v[2:3], s[6:7] scope:SCOPE_SYS
.LBB0_2012:                             ;   Parent Loop BB0_2003 Depth=1
                                        ; =>  This Inner Loop Header: Depth=2
	global_load_b64 v[2:3], v0, s[4:5] scope:SCOPE_SYS
	s_wait_loadcnt 0x0
	v_cmp_ne_u64_e32 vcc_lo, s[10:11], v[2:3]
	s_cbranch_vccnz .LBB0_2012
; %bb.2013:                             ;   in Loop: Header=BB0_2003 Depth=1
	s_add_co_i32 s10, s8, 5
	s_mov_b32 s11, s9
	s_delay_alu instid0(SALU_CYCLE_1)
	v_mov_b64_e32 v[2:3], s[10:11]
	s_wait_xcnt 0x0
	global_store_b64 v0, v[2:3], s[6:7] scope:SCOPE_SYS
.LBB0_2014:                             ;   Parent Loop BB0_2003 Depth=1
                                        ; =>  This Inner Loop Header: Depth=2
	global_load_b64 v[2:3], v0, s[4:5] scope:SCOPE_SYS
	s_wait_loadcnt 0x0
	v_cmp_ne_u64_e32 vcc_lo, s[10:11], v[2:3]
	s_cbranch_vccnz .LBB0_2014
; %bb.2015:                             ;   in Loop: Header=BB0_2003 Depth=1
	s_add_co_i32 s10, s8, 6
	s_mov_b32 s11, s9
	s_delay_alu instid0(SALU_CYCLE_1)
	v_mov_b64_e32 v[2:3], s[10:11]
	s_wait_xcnt 0x0
	global_store_b64 v0, v[2:3], s[6:7] scope:SCOPE_SYS
.LBB0_2016:                             ;   Parent Loop BB0_2003 Depth=1
                                        ; =>  This Inner Loop Header: Depth=2
	global_load_b64 v[2:3], v0, s[4:5] scope:SCOPE_SYS
	s_wait_loadcnt 0x0
	v_cmp_ne_u64_e32 vcc_lo, s[10:11], v[2:3]
	s_cbranch_vccnz .LBB0_2016
; %bb.2017:                             ;   in Loop: Header=BB0_2003 Depth=1
	s_add_co_i32 s10, s8, 7
	s_mov_b32 s11, s9
	s_delay_alu instid0(SALU_CYCLE_1)
	v_mov_b64_e32 v[2:3], s[10:11]
	s_wait_xcnt 0x0
	global_store_b64 v0, v[2:3], s[6:7] scope:SCOPE_SYS
.LBB0_2018:                             ;   Parent Loop BB0_2003 Depth=1
                                        ; =>  This Inner Loop Header: Depth=2
	global_load_b64 v[2:3], v0, s[4:5] scope:SCOPE_SYS
	s_wait_loadcnt 0x0
	v_cmp_ne_u64_e32 vcc_lo, s[10:11], v[2:3]
	s_cbranch_vccnz .LBB0_2018
; %bb.2019:                             ;   in Loop: Header=BB0_2003 Depth=1
	s_add_co_i32 s10, s8, 8
	s_mov_b32 s11, s9
	s_delay_alu instid0(SALU_CYCLE_1)
	v_mov_b64_e32 v[2:3], s[10:11]
	s_wait_xcnt 0x0
	global_store_b64 v0, v[2:3], s[6:7] scope:SCOPE_SYS
.LBB0_2020:                             ;   Parent Loop BB0_2003 Depth=1
                                        ; =>  This Inner Loop Header: Depth=2
	global_load_b64 v[2:3], v0, s[4:5] scope:SCOPE_SYS
	s_wait_loadcnt 0x0
	v_cmp_ne_u64_e32 vcc_lo, s[10:11], v[2:3]
	s_cbranch_vccnz .LBB0_2020
; %bb.2021:                             ;   in Loop: Header=BB0_2003 Depth=1
	s_add_co_i32 s10, s8, 9
	s_mov_b32 s11, s9
	s_delay_alu instid0(SALU_CYCLE_1)
	v_mov_b64_e32 v[2:3], s[10:11]
	s_wait_xcnt 0x0
	global_store_b64 v0, v[2:3], s[6:7] scope:SCOPE_SYS
.LBB0_2022:                             ;   Parent Loop BB0_2003 Depth=1
                                        ; =>  This Inner Loop Header: Depth=2
	global_load_b64 v[2:3], v0, s[4:5] scope:SCOPE_SYS
	s_wait_loadcnt 0x0
	v_cmp_ne_u64_e32 vcc_lo, s[10:11], v[2:3]
	s_cbranch_vccnz .LBB0_2022
; %bb.2023:                             ;   in Loop: Header=BB0_2003 Depth=1
	s_add_co_i32 s10, s8, 10
	s_mov_b32 s11, s9
	s_delay_alu instid0(SALU_CYCLE_1)
	v_mov_b64_e32 v[2:3], s[10:11]
	s_wait_xcnt 0x0
	global_store_b64 v0, v[2:3], s[6:7] scope:SCOPE_SYS
.LBB0_2024:                             ;   Parent Loop BB0_2003 Depth=1
                                        ; =>  This Inner Loop Header: Depth=2
	global_load_b64 v[2:3], v0, s[4:5] scope:SCOPE_SYS
	s_wait_loadcnt 0x0
	v_cmp_ne_u64_e32 vcc_lo, s[10:11], v[2:3]
	s_cbranch_vccnz .LBB0_2024
; %bb.2025:                             ;   in Loop: Header=BB0_2003 Depth=1
	s_add_co_i32 s10, s8, 11
	s_mov_b32 s11, s9
	s_delay_alu instid0(SALU_CYCLE_1)
	v_mov_b64_e32 v[2:3], s[10:11]
	s_wait_xcnt 0x0
	global_store_b64 v0, v[2:3], s[6:7] scope:SCOPE_SYS
.LBB0_2026:                             ;   Parent Loop BB0_2003 Depth=1
                                        ; =>  This Inner Loop Header: Depth=2
	global_load_b64 v[2:3], v0, s[4:5] scope:SCOPE_SYS
	s_wait_loadcnt 0x0
	v_cmp_ne_u64_e32 vcc_lo, s[10:11], v[2:3]
	s_cbranch_vccnz .LBB0_2026
; %bb.2027:                             ;   in Loop: Header=BB0_2003 Depth=1
	s_add_co_i32 s10, s8, 12
	s_mov_b32 s11, s9
	s_delay_alu instid0(SALU_CYCLE_1)
	v_mov_b64_e32 v[2:3], s[10:11]
	s_wait_xcnt 0x0
	global_store_b64 v0, v[2:3], s[6:7] scope:SCOPE_SYS
.LBB0_2028:                             ;   Parent Loop BB0_2003 Depth=1
                                        ; =>  This Inner Loop Header: Depth=2
	global_load_b64 v[2:3], v0, s[4:5] scope:SCOPE_SYS
	s_wait_loadcnt 0x0
	v_cmp_ne_u64_e32 vcc_lo, s[10:11], v[2:3]
	s_cbranch_vccnz .LBB0_2028
; %bb.2029:                             ;   in Loop: Header=BB0_2003 Depth=1
	s_add_co_i32 s10, s8, 13
	s_mov_b32 s11, s9
	s_delay_alu instid0(SALU_CYCLE_1)
	v_mov_b64_e32 v[2:3], s[10:11]
	s_wait_xcnt 0x0
	global_store_b64 v0, v[2:3], s[6:7] scope:SCOPE_SYS
.LBB0_2030:                             ;   Parent Loop BB0_2003 Depth=1
                                        ; =>  This Inner Loop Header: Depth=2
	global_load_b64 v[2:3], v0, s[4:5] scope:SCOPE_SYS
	s_wait_loadcnt 0x0
	v_cmp_ne_u64_e32 vcc_lo, s[10:11], v[2:3]
	s_cbranch_vccnz .LBB0_2030
; %bb.2031:                             ;   in Loop: Header=BB0_2003 Depth=1
	s_add_co_i32 s10, s8, 14
	s_mov_b32 s11, s9
	s_delay_alu instid0(SALU_CYCLE_1)
	v_mov_b64_e32 v[2:3], s[10:11]
	s_wait_xcnt 0x0
	global_store_b64 v0, v[2:3], s[6:7] scope:SCOPE_SYS
.LBB0_2032:                             ;   Parent Loop BB0_2003 Depth=1
                                        ; =>  This Inner Loop Header: Depth=2
	global_load_b64 v[2:3], v0, s[4:5] scope:SCOPE_SYS
	s_wait_loadcnt 0x0
	v_cmp_ne_u64_e32 vcc_lo, s[10:11], v[2:3]
	s_cbranch_vccnz .LBB0_2032
; %bb.2033:                             ;   in Loop: Header=BB0_2003 Depth=1
	s_add_co_i32 s10, s8, 15
	s_mov_b32 s11, s9
	s_delay_alu instid0(SALU_CYCLE_1)
	v_mov_b64_e32 v[2:3], s[10:11]
	s_wait_xcnt 0x0
	global_store_b64 v0, v[2:3], s[6:7] scope:SCOPE_SYS
.LBB0_2034:                             ;   Parent Loop BB0_2003 Depth=1
                                        ; =>  This Inner Loop Header: Depth=2
	global_load_b64 v[2:3], v0, s[4:5] scope:SCOPE_SYS
	s_wait_loadcnt 0x0
	v_cmp_ne_u64_e32 vcc_lo, s[10:11], v[2:3]
	s_cbranch_vccnz .LBB0_2034
; %bb.2035:                             ;   in Loop: Header=BB0_2003 Depth=1
	s_add_co_i32 s10, s8, 16
	s_mov_b32 s11, s9
	s_delay_alu instid0(SALU_CYCLE_1)
	v_mov_b64_e32 v[2:3], s[10:11]
	s_wait_xcnt 0x0
	global_store_b64 v0, v[2:3], s[6:7] scope:SCOPE_SYS
.LBB0_2036:                             ;   Parent Loop BB0_2003 Depth=1
                                        ; =>  This Inner Loop Header: Depth=2
	global_load_b64 v[2:3], v0, s[4:5] scope:SCOPE_SYS
	s_wait_loadcnt 0x0
	v_cmp_ne_u64_e32 vcc_lo, s[10:11], v[2:3]
	s_cbranch_vccnz .LBB0_2036
; %bb.2037:                             ;   in Loop: Header=BB0_2003 Depth=1
	s_add_co_i32 s10, s8, 17
	s_mov_b32 s11, s9
	s_delay_alu instid0(SALU_CYCLE_1)
	v_mov_b64_e32 v[2:3], s[10:11]
	s_wait_xcnt 0x0
	global_store_b64 v0, v[2:3], s[6:7] scope:SCOPE_SYS
.LBB0_2038:                             ;   Parent Loop BB0_2003 Depth=1
                                        ; =>  This Inner Loop Header: Depth=2
	global_load_b64 v[2:3], v0, s[4:5] scope:SCOPE_SYS
	s_wait_loadcnt 0x0
	v_cmp_ne_u64_e32 vcc_lo, s[10:11], v[2:3]
	s_cbranch_vccnz .LBB0_2038
; %bb.2039:                             ;   in Loop: Header=BB0_2003 Depth=1
	s_add_co_i32 s10, s8, 18
	s_mov_b32 s11, s9
	s_delay_alu instid0(SALU_CYCLE_1)
	v_mov_b64_e32 v[2:3], s[10:11]
	s_wait_xcnt 0x0
	global_store_b64 v0, v[2:3], s[6:7] scope:SCOPE_SYS
.LBB0_2040:                             ;   Parent Loop BB0_2003 Depth=1
                                        ; =>  This Inner Loop Header: Depth=2
	global_load_b64 v[2:3], v0, s[4:5] scope:SCOPE_SYS
	s_wait_loadcnt 0x0
	v_cmp_ne_u64_e32 vcc_lo, s[10:11], v[2:3]
	s_cbranch_vccnz .LBB0_2040
; %bb.2041:                             ;   in Loop: Header=BB0_2003 Depth=1
	s_add_co_i32 s10, s8, 19
	s_mov_b32 s11, s9
	s_delay_alu instid0(SALU_CYCLE_1)
	v_mov_b64_e32 v[2:3], s[10:11]
	s_wait_xcnt 0x0
	global_store_b64 v0, v[2:3], s[6:7] scope:SCOPE_SYS
.LBB0_2042:                             ;   Parent Loop BB0_2003 Depth=1
                                        ; =>  This Inner Loop Header: Depth=2
	global_load_b64 v[2:3], v0, s[4:5] scope:SCOPE_SYS
	s_wait_loadcnt 0x0
	v_cmp_ne_u64_e32 vcc_lo, s[10:11], v[2:3]
	s_cbranch_vccnz .LBB0_2042
; %bb.2043:                             ;   in Loop: Header=BB0_2003 Depth=1
	s_add_co_i32 s10, s8, 20
	s_mov_b32 s11, s9
	s_delay_alu instid0(SALU_CYCLE_1)
	v_mov_b64_e32 v[2:3], s[10:11]
	s_wait_xcnt 0x0
	global_store_b64 v0, v[2:3], s[6:7] scope:SCOPE_SYS
.LBB0_2044:                             ;   Parent Loop BB0_2003 Depth=1
                                        ; =>  This Inner Loop Header: Depth=2
	global_load_b64 v[2:3], v0, s[4:5] scope:SCOPE_SYS
	s_wait_loadcnt 0x0
	v_cmp_ne_u64_e32 vcc_lo, s[10:11], v[2:3]
	s_cbranch_vccnz .LBB0_2044
; %bb.2045:                             ;   in Loop: Header=BB0_2003 Depth=1
	s_add_co_i32 s10, s8, 21
	s_mov_b32 s11, s9
	s_delay_alu instid0(SALU_CYCLE_1)
	v_mov_b64_e32 v[2:3], s[10:11]
	s_wait_xcnt 0x0
	global_store_b64 v0, v[2:3], s[6:7] scope:SCOPE_SYS
.LBB0_2046:                             ;   Parent Loop BB0_2003 Depth=1
                                        ; =>  This Inner Loop Header: Depth=2
	global_load_b64 v[2:3], v0, s[4:5] scope:SCOPE_SYS
	s_wait_loadcnt 0x0
	v_cmp_ne_u64_e32 vcc_lo, s[10:11], v[2:3]
	s_cbranch_vccnz .LBB0_2046
; %bb.2047:                             ;   in Loop: Header=BB0_2003 Depth=1
	s_add_co_i32 s10, s8, 22
	s_mov_b32 s11, s9
	s_delay_alu instid0(SALU_CYCLE_1)
	v_mov_b64_e32 v[2:3], s[10:11]
	s_wait_xcnt 0x0
	global_store_b64 v0, v[2:3], s[6:7] scope:SCOPE_SYS
.LBB0_2048:                             ;   Parent Loop BB0_2003 Depth=1
                                        ; =>  This Inner Loop Header: Depth=2
	global_load_b64 v[2:3], v0, s[4:5] scope:SCOPE_SYS
	s_wait_loadcnt 0x0
	v_cmp_ne_u64_e32 vcc_lo, s[10:11], v[2:3]
	s_cbranch_vccnz .LBB0_2048
; %bb.2049:                             ;   in Loop: Header=BB0_2003 Depth=1
	s_add_co_i32 s10, s8, 23
	s_mov_b32 s11, s9
	s_delay_alu instid0(SALU_CYCLE_1)
	v_mov_b64_e32 v[2:3], s[10:11]
	s_wait_xcnt 0x0
	global_store_b64 v0, v[2:3], s[6:7] scope:SCOPE_SYS
.LBB0_2050:                             ;   Parent Loop BB0_2003 Depth=1
                                        ; =>  This Inner Loop Header: Depth=2
	global_load_b64 v[2:3], v0, s[4:5] scope:SCOPE_SYS
	s_wait_loadcnt 0x0
	v_cmp_ne_u64_e32 vcc_lo, s[10:11], v[2:3]
	s_cbranch_vccnz .LBB0_2050
; %bb.2051:                             ;   in Loop: Header=BB0_2003 Depth=1
	s_add_co_i32 s10, s8, 24
	s_mov_b32 s11, s9
	s_delay_alu instid0(SALU_CYCLE_1)
	v_mov_b64_e32 v[2:3], s[10:11]
	s_wait_xcnt 0x0
	global_store_b64 v0, v[2:3], s[6:7] scope:SCOPE_SYS
.LBB0_2052:                             ;   Parent Loop BB0_2003 Depth=1
                                        ; =>  This Inner Loop Header: Depth=2
	global_load_b64 v[2:3], v0, s[4:5] scope:SCOPE_SYS
	s_wait_loadcnt 0x0
	v_cmp_ne_u64_e32 vcc_lo, s[10:11], v[2:3]
	s_cbranch_vccnz .LBB0_2052
; %bb.2053:                             ;   in Loop: Header=BB0_2003 Depth=1
	s_add_co_i32 s10, s8, 25
	s_mov_b32 s11, s9
	s_delay_alu instid0(SALU_CYCLE_1)
	v_mov_b64_e32 v[2:3], s[10:11]
	s_wait_xcnt 0x0
	global_store_b64 v0, v[2:3], s[6:7] scope:SCOPE_SYS
.LBB0_2054:                             ;   Parent Loop BB0_2003 Depth=1
                                        ; =>  This Inner Loop Header: Depth=2
	global_load_b64 v[2:3], v0, s[4:5] scope:SCOPE_SYS
	s_wait_loadcnt 0x0
	v_cmp_ne_u64_e32 vcc_lo, s[10:11], v[2:3]
	s_cbranch_vccnz .LBB0_2054
; %bb.2055:                             ;   in Loop: Header=BB0_2003 Depth=1
	s_add_co_i32 s10, s8, 26
	s_mov_b32 s11, s9
	s_delay_alu instid0(SALU_CYCLE_1)
	v_mov_b64_e32 v[2:3], s[10:11]
	s_wait_xcnt 0x0
	global_store_b64 v0, v[2:3], s[6:7] scope:SCOPE_SYS
.LBB0_2056:                             ;   Parent Loop BB0_2003 Depth=1
                                        ; =>  This Inner Loop Header: Depth=2
	global_load_b64 v[2:3], v0, s[4:5] scope:SCOPE_SYS
	s_wait_loadcnt 0x0
	v_cmp_ne_u64_e32 vcc_lo, s[10:11], v[2:3]
	s_cbranch_vccnz .LBB0_2056
; %bb.2057:                             ;   in Loop: Header=BB0_2003 Depth=1
	s_add_co_i32 s10, s8, 27
	s_mov_b32 s11, s9
	s_delay_alu instid0(SALU_CYCLE_1)
	v_mov_b64_e32 v[2:3], s[10:11]
	s_wait_xcnt 0x0
	global_store_b64 v0, v[2:3], s[6:7] scope:SCOPE_SYS
.LBB0_2058:                             ;   Parent Loop BB0_2003 Depth=1
                                        ; =>  This Inner Loop Header: Depth=2
	global_load_b64 v[2:3], v0, s[4:5] scope:SCOPE_SYS
	s_wait_loadcnt 0x0
	v_cmp_ne_u64_e32 vcc_lo, s[10:11], v[2:3]
	s_cbranch_vccnz .LBB0_2058
; %bb.2059:                             ;   in Loop: Header=BB0_2003 Depth=1
	s_add_co_i32 s10, s8, 28
	s_mov_b32 s11, s9
	s_delay_alu instid0(SALU_CYCLE_1)
	v_mov_b64_e32 v[2:3], s[10:11]
	s_wait_xcnt 0x0
	global_store_b64 v0, v[2:3], s[6:7] scope:SCOPE_SYS
.LBB0_2060:                             ;   Parent Loop BB0_2003 Depth=1
                                        ; =>  This Inner Loop Header: Depth=2
	global_load_b64 v[2:3], v0, s[4:5] scope:SCOPE_SYS
	s_wait_loadcnt 0x0
	v_cmp_ne_u64_e32 vcc_lo, s[10:11], v[2:3]
	s_cbranch_vccnz .LBB0_2060
; %bb.2061:                             ;   in Loop: Header=BB0_2003 Depth=1
	s_add_co_i32 s10, s8, 29
	s_mov_b32 s11, s9
	s_delay_alu instid0(SALU_CYCLE_1)
	v_mov_b64_e32 v[2:3], s[10:11]
	s_wait_xcnt 0x0
	global_store_b64 v0, v[2:3], s[6:7] scope:SCOPE_SYS
.LBB0_2062:                             ;   Parent Loop BB0_2003 Depth=1
                                        ; =>  This Inner Loop Header: Depth=2
	global_load_b64 v[2:3], v0, s[4:5] scope:SCOPE_SYS
	s_wait_loadcnt 0x0
	v_cmp_ne_u64_e32 vcc_lo, s[10:11], v[2:3]
	s_cbranch_vccnz .LBB0_2062
; %bb.2063:                             ;   in Loop: Header=BB0_2003 Depth=1
	s_add_co_i32 s10, s8, 30
	s_mov_b32 s11, s9
	s_delay_alu instid0(SALU_CYCLE_1)
	v_mov_b64_e32 v[2:3], s[10:11]
	s_wait_xcnt 0x0
	global_store_b64 v0, v[2:3], s[6:7] scope:SCOPE_SYS
.LBB0_2064:                             ;   Parent Loop BB0_2003 Depth=1
                                        ; =>  This Inner Loop Header: Depth=2
	global_load_b64 v[2:3], v0, s[4:5] scope:SCOPE_SYS
	s_wait_loadcnt 0x0
	v_cmp_ne_u64_e32 vcc_lo, s[10:11], v[2:3]
	s_cbranch_vccnz .LBB0_2064
; %bb.2065:                             ;   in Loop: Header=BB0_2003 Depth=1
	s_add_co_i32 s10, s8, 31
	s_mov_b32 s11, s9
	s_delay_alu instid0(SALU_CYCLE_1)
	v_mov_b64_e32 v[2:3], s[10:11]
	s_wait_xcnt 0x0
	global_store_b64 v0, v[2:3], s[6:7] scope:SCOPE_SYS
.LBB0_2066:                             ;   Parent Loop BB0_2003 Depth=1
                                        ; =>  This Inner Loop Header: Depth=2
	global_load_b64 v[2:3], v0, s[4:5] scope:SCOPE_SYS
	s_wait_loadcnt 0x0
	v_cmp_ne_u64_e32 vcc_lo, s[10:11], v[2:3]
	s_cbranch_vccnz .LBB0_2066
; %bb.2067:                             ;   in Loop: Header=BB0_2003 Depth=1
	s_add_co_i32 s10, s8, 32
	s_mov_b32 s11, s9
	s_delay_alu instid0(SALU_CYCLE_1)
	v_mov_b64_e32 v[2:3], s[10:11]
	s_wait_xcnt 0x0
	global_store_b64 v0, v[2:3], s[6:7] scope:SCOPE_SYS
.LBB0_2068:                             ;   Parent Loop BB0_2003 Depth=1
                                        ; =>  This Inner Loop Header: Depth=2
	global_load_b64 v[2:3], v0, s[4:5] scope:SCOPE_SYS
	s_wait_loadcnt 0x0
	v_cmp_ne_u64_e32 vcc_lo, s[10:11], v[2:3]
	s_cbranch_vccnz .LBB0_2068
; %bb.2069:                             ;   in Loop: Header=BB0_2003 Depth=1
	s_add_co_i32 s10, s8, 33
	s_mov_b32 s11, s9
	s_delay_alu instid0(SALU_CYCLE_1)
	v_mov_b64_e32 v[2:3], s[10:11]
	s_wait_xcnt 0x0
	global_store_b64 v0, v[2:3], s[6:7] scope:SCOPE_SYS
.LBB0_2070:                             ;   Parent Loop BB0_2003 Depth=1
                                        ; =>  This Inner Loop Header: Depth=2
	global_load_b64 v[2:3], v0, s[4:5] scope:SCOPE_SYS
	s_wait_loadcnt 0x0
	v_cmp_ne_u64_e32 vcc_lo, s[10:11], v[2:3]
	s_cbranch_vccnz .LBB0_2070
; %bb.2071:                             ;   in Loop: Header=BB0_2003 Depth=1
	s_add_co_i32 s10, s8, 34
	s_mov_b32 s11, s9
	s_delay_alu instid0(SALU_CYCLE_1)
	v_mov_b64_e32 v[2:3], s[10:11]
	s_wait_xcnt 0x0
	global_store_b64 v0, v[2:3], s[6:7] scope:SCOPE_SYS
.LBB0_2072:                             ;   Parent Loop BB0_2003 Depth=1
                                        ; =>  This Inner Loop Header: Depth=2
	global_load_b64 v[2:3], v0, s[4:5] scope:SCOPE_SYS
	s_wait_loadcnt 0x0
	v_cmp_ne_u64_e32 vcc_lo, s[10:11], v[2:3]
	s_cbranch_vccnz .LBB0_2072
; %bb.2073:                             ;   in Loop: Header=BB0_2003 Depth=1
	s_add_co_i32 s10, s8, 35
	s_mov_b32 s11, s9
	s_delay_alu instid0(SALU_CYCLE_1)
	v_mov_b64_e32 v[2:3], s[10:11]
	s_wait_xcnt 0x0
	global_store_b64 v0, v[2:3], s[6:7] scope:SCOPE_SYS
.LBB0_2074:                             ;   Parent Loop BB0_2003 Depth=1
                                        ; =>  This Inner Loop Header: Depth=2
	global_load_b64 v[2:3], v0, s[4:5] scope:SCOPE_SYS
	s_wait_loadcnt 0x0
	v_cmp_ne_u64_e32 vcc_lo, s[10:11], v[2:3]
	s_cbranch_vccnz .LBB0_2074
; %bb.2075:                             ;   in Loop: Header=BB0_2003 Depth=1
	s_add_co_i32 s10, s8, 36
	s_mov_b32 s11, s9
	s_delay_alu instid0(SALU_CYCLE_1)
	v_mov_b64_e32 v[2:3], s[10:11]
	s_wait_xcnt 0x0
	global_store_b64 v0, v[2:3], s[6:7] scope:SCOPE_SYS
.LBB0_2076:                             ;   Parent Loop BB0_2003 Depth=1
                                        ; =>  This Inner Loop Header: Depth=2
	global_load_b64 v[2:3], v0, s[4:5] scope:SCOPE_SYS
	s_wait_loadcnt 0x0
	v_cmp_ne_u64_e32 vcc_lo, s[10:11], v[2:3]
	s_cbranch_vccnz .LBB0_2076
; %bb.2077:                             ;   in Loop: Header=BB0_2003 Depth=1
	s_add_co_i32 s10, s8, 37
	s_mov_b32 s11, s9
	s_delay_alu instid0(SALU_CYCLE_1)
	v_mov_b64_e32 v[2:3], s[10:11]
	s_wait_xcnt 0x0
	global_store_b64 v0, v[2:3], s[6:7] scope:SCOPE_SYS
.LBB0_2078:                             ;   Parent Loop BB0_2003 Depth=1
                                        ; =>  This Inner Loop Header: Depth=2
	global_load_b64 v[2:3], v0, s[4:5] scope:SCOPE_SYS
	s_wait_loadcnt 0x0
	v_cmp_ne_u64_e32 vcc_lo, s[10:11], v[2:3]
	s_cbranch_vccnz .LBB0_2078
; %bb.2079:                             ;   in Loop: Header=BB0_2003 Depth=1
	s_add_co_i32 s10, s8, 38
	s_mov_b32 s11, s9
	s_delay_alu instid0(SALU_CYCLE_1)
	v_mov_b64_e32 v[2:3], s[10:11]
	s_wait_xcnt 0x0
	global_store_b64 v0, v[2:3], s[6:7] scope:SCOPE_SYS
.LBB0_2080:                             ;   Parent Loop BB0_2003 Depth=1
                                        ; =>  This Inner Loop Header: Depth=2
	global_load_b64 v[2:3], v0, s[4:5] scope:SCOPE_SYS
	s_wait_loadcnt 0x0
	v_cmp_ne_u64_e32 vcc_lo, s[10:11], v[2:3]
	s_cbranch_vccnz .LBB0_2080
; %bb.2081:                             ;   in Loop: Header=BB0_2003 Depth=1
	s_add_co_i32 s10, s8, 39
	s_mov_b32 s11, s9
	s_delay_alu instid0(SALU_CYCLE_1)
	v_mov_b64_e32 v[2:3], s[10:11]
	s_wait_xcnt 0x0
	global_store_b64 v0, v[2:3], s[6:7] scope:SCOPE_SYS
.LBB0_2082:                             ;   Parent Loop BB0_2003 Depth=1
                                        ; =>  This Inner Loop Header: Depth=2
	global_load_b64 v[2:3], v0, s[4:5] scope:SCOPE_SYS
	s_wait_loadcnt 0x0
	v_cmp_ne_u64_e32 vcc_lo, s[10:11], v[2:3]
	s_cbranch_vccnz .LBB0_2082
; %bb.2083:                             ;   in Loop: Header=BB0_2003 Depth=1
	s_add_co_i32 s10, s8, 40
	s_mov_b32 s11, s9
	s_delay_alu instid0(SALU_CYCLE_1)
	v_mov_b64_e32 v[2:3], s[10:11]
	s_wait_xcnt 0x0
	global_store_b64 v0, v[2:3], s[6:7] scope:SCOPE_SYS
.LBB0_2084:                             ;   Parent Loop BB0_2003 Depth=1
                                        ; =>  This Inner Loop Header: Depth=2
	global_load_b64 v[2:3], v0, s[4:5] scope:SCOPE_SYS
	s_wait_loadcnt 0x0
	v_cmp_ne_u64_e32 vcc_lo, s[10:11], v[2:3]
	s_cbranch_vccnz .LBB0_2084
; %bb.2085:                             ;   in Loop: Header=BB0_2003 Depth=1
	s_add_co_i32 s10, s8, 41
	s_mov_b32 s11, s9
	s_delay_alu instid0(SALU_CYCLE_1)
	v_mov_b64_e32 v[2:3], s[10:11]
	s_wait_xcnt 0x0
	global_store_b64 v0, v[2:3], s[6:7] scope:SCOPE_SYS
.LBB0_2086:                             ;   Parent Loop BB0_2003 Depth=1
                                        ; =>  This Inner Loop Header: Depth=2
	global_load_b64 v[2:3], v0, s[4:5] scope:SCOPE_SYS
	s_wait_loadcnt 0x0
	v_cmp_ne_u64_e32 vcc_lo, s[10:11], v[2:3]
	s_cbranch_vccnz .LBB0_2086
; %bb.2087:                             ;   in Loop: Header=BB0_2003 Depth=1
	s_add_co_i32 s10, s8, 42
	s_mov_b32 s11, s9
	s_delay_alu instid0(SALU_CYCLE_1)
	v_mov_b64_e32 v[2:3], s[10:11]
	s_wait_xcnt 0x0
	global_store_b64 v0, v[2:3], s[6:7] scope:SCOPE_SYS
.LBB0_2088:                             ;   Parent Loop BB0_2003 Depth=1
                                        ; =>  This Inner Loop Header: Depth=2
	global_load_b64 v[2:3], v0, s[4:5] scope:SCOPE_SYS
	s_wait_loadcnt 0x0
	v_cmp_ne_u64_e32 vcc_lo, s[10:11], v[2:3]
	s_cbranch_vccnz .LBB0_2088
; %bb.2089:                             ;   in Loop: Header=BB0_2003 Depth=1
	s_add_co_i32 s10, s8, 43
	s_mov_b32 s11, s9
	s_delay_alu instid0(SALU_CYCLE_1)
	v_mov_b64_e32 v[2:3], s[10:11]
	s_wait_xcnt 0x0
	global_store_b64 v0, v[2:3], s[6:7] scope:SCOPE_SYS
.LBB0_2090:                             ;   Parent Loop BB0_2003 Depth=1
                                        ; =>  This Inner Loop Header: Depth=2
	global_load_b64 v[2:3], v0, s[4:5] scope:SCOPE_SYS
	s_wait_loadcnt 0x0
	v_cmp_ne_u64_e32 vcc_lo, s[10:11], v[2:3]
	s_cbranch_vccnz .LBB0_2090
; %bb.2091:                             ;   in Loop: Header=BB0_2003 Depth=1
	s_add_co_i32 s10, s8, 44
	s_mov_b32 s11, s9
	s_delay_alu instid0(SALU_CYCLE_1)
	v_mov_b64_e32 v[2:3], s[10:11]
	s_wait_xcnt 0x0
	global_store_b64 v0, v[2:3], s[6:7] scope:SCOPE_SYS
.LBB0_2092:                             ;   Parent Loop BB0_2003 Depth=1
                                        ; =>  This Inner Loop Header: Depth=2
	global_load_b64 v[2:3], v0, s[4:5] scope:SCOPE_SYS
	s_wait_loadcnt 0x0
	v_cmp_ne_u64_e32 vcc_lo, s[10:11], v[2:3]
	s_cbranch_vccnz .LBB0_2092
; %bb.2093:                             ;   in Loop: Header=BB0_2003 Depth=1
	s_add_co_i32 s10, s8, 45
	s_mov_b32 s11, s9
	s_delay_alu instid0(SALU_CYCLE_1)
	v_mov_b64_e32 v[2:3], s[10:11]
	s_wait_xcnt 0x0
	global_store_b64 v0, v[2:3], s[6:7] scope:SCOPE_SYS
.LBB0_2094:                             ;   Parent Loop BB0_2003 Depth=1
                                        ; =>  This Inner Loop Header: Depth=2
	global_load_b64 v[2:3], v0, s[4:5] scope:SCOPE_SYS
	s_wait_loadcnt 0x0
	v_cmp_ne_u64_e32 vcc_lo, s[10:11], v[2:3]
	s_cbranch_vccnz .LBB0_2094
; %bb.2095:                             ;   in Loop: Header=BB0_2003 Depth=1
	s_add_co_i32 s10, s8, 46
	s_mov_b32 s11, s9
	s_delay_alu instid0(SALU_CYCLE_1)
	v_mov_b64_e32 v[2:3], s[10:11]
	s_wait_xcnt 0x0
	global_store_b64 v0, v[2:3], s[6:7] scope:SCOPE_SYS
.LBB0_2096:                             ;   Parent Loop BB0_2003 Depth=1
                                        ; =>  This Inner Loop Header: Depth=2
	global_load_b64 v[2:3], v0, s[4:5] scope:SCOPE_SYS
	s_wait_loadcnt 0x0
	v_cmp_ne_u64_e32 vcc_lo, s[10:11], v[2:3]
	s_cbranch_vccnz .LBB0_2096
; %bb.2097:                             ;   in Loop: Header=BB0_2003 Depth=1
	s_add_co_i32 s10, s8, 47
	s_mov_b32 s11, s9
	s_delay_alu instid0(SALU_CYCLE_1)
	v_mov_b64_e32 v[2:3], s[10:11]
	s_wait_xcnt 0x0
	global_store_b64 v0, v[2:3], s[6:7] scope:SCOPE_SYS
.LBB0_2098:                             ;   Parent Loop BB0_2003 Depth=1
                                        ; =>  This Inner Loop Header: Depth=2
	global_load_b64 v[2:3], v0, s[4:5] scope:SCOPE_SYS
	s_wait_loadcnt 0x0
	v_cmp_ne_u64_e32 vcc_lo, s[10:11], v[2:3]
	s_cbranch_vccnz .LBB0_2098
; %bb.2099:                             ;   in Loop: Header=BB0_2003 Depth=1
	s_add_co_i32 s10, s8, 48
	s_mov_b32 s11, s9
	s_delay_alu instid0(SALU_CYCLE_1)
	v_mov_b64_e32 v[2:3], s[10:11]
	s_wait_xcnt 0x0
	global_store_b64 v0, v[2:3], s[6:7] scope:SCOPE_SYS
.LBB0_2100:                             ;   Parent Loop BB0_2003 Depth=1
                                        ; =>  This Inner Loop Header: Depth=2
	global_load_b64 v[2:3], v0, s[4:5] scope:SCOPE_SYS
	s_wait_loadcnt 0x0
	v_cmp_ne_u64_e32 vcc_lo, s[10:11], v[2:3]
	s_cbranch_vccnz .LBB0_2100
; %bb.2101:                             ;   in Loop: Header=BB0_2003 Depth=1
	s_add_co_i32 s10, s8, 49
	s_mov_b32 s11, s9
	s_delay_alu instid0(SALU_CYCLE_1)
	v_mov_b64_e32 v[2:3], s[10:11]
	s_wait_xcnt 0x0
	global_store_b64 v0, v[2:3], s[6:7] scope:SCOPE_SYS
.LBB0_2102:                             ;   Parent Loop BB0_2003 Depth=1
                                        ; =>  This Inner Loop Header: Depth=2
	global_load_b64 v[2:3], v0, s[4:5] scope:SCOPE_SYS
	s_wait_loadcnt 0x0
	v_cmp_ne_u64_e32 vcc_lo, s[10:11], v[2:3]
	s_cbranch_vccnz .LBB0_2102
; %bb.2103:                             ;   in Loop: Header=BB0_2003 Depth=1
	s_add_co_i32 s10, s8, 50
	s_mov_b32 s11, s9
	s_delay_alu instid0(SALU_CYCLE_1)
	v_mov_b64_e32 v[2:3], s[10:11]
	s_wait_xcnt 0x0
	global_store_b64 v0, v[2:3], s[6:7] scope:SCOPE_SYS
.LBB0_2104:                             ;   Parent Loop BB0_2003 Depth=1
                                        ; =>  This Inner Loop Header: Depth=2
	global_load_b64 v[2:3], v0, s[4:5] scope:SCOPE_SYS
	s_wait_loadcnt 0x0
	v_cmp_ne_u64_e32 vcc_lo, s[10:11], v[2:3]
	s_cbranch_vccnz .LBB0_2104
; %bb.2105:                             ;   in Loop: Header=BB0_2003 Depth=1
	s_add_co_i32 s10, s8, 51
	s_mov_b32 s11, s9
	s_delay_alu instid0(SALU_CYCLE_1)
	v_mov_b64_e32 v[2:3], s[10:11]
	s_wait_xcnt 0x0
	global_store_b64 v0, v[2:3], s[6:7] scope:SCOPE_SYS
.LBB0_2106:                             ;   Parent Loop BB0_2003 Depth=1
                                        ; =>  This Inner Loop Header: Depth=2
	global_load_b64 v[2:3], v0, s[4:5] scope:SCOPE_SYS
	s_wait_loadcnt 0x0
	v_cmp_ne_u64_e32 vcc_lo, s[10:11], v[2:3]
	s_cbranch_vccnz .LBB0_2106
; %bb.2107:                             ;   in Loop: Header=BB0_2003 Depth=1
	s_add_co_i32 s10, s8, 52
	s_mov_b32 s11, s9
	s_delay_alu instid0(SALU_CYCLE_1)
	v_mov_b64_e32 v[2:3], s[10:11]
	s_wait_xcnt 0x0
	global_store_b64 v0, v[2:3], s[6:7] scope:SCOPE_SYS
.LBB0_2108:                             ;   Parent Loop BB0_2003 Depth=1
                                        ; =>  This Inner Loop Header: Depth=2
	global_load_b64 v[2:3], v0, s[4:5] scope:SCOPE_SYS
	s_wait_loadcnt 0x0
	v_cmp_ne_u64_e32 vcc_lo, s[10:11], v[2:3]
	s_cbranch_vccnz .LBB0_2108
; %bb.2109:                             ;   in Loop: Header=BB0_2003 Depth=1
	s_add_co_i32 s10, s8, 53
	s_mov_b32 s11, s9
	s_delay_alu instid0(SALU_CYCLE_1)
	v_mov_b64_e32 v[2:3], s[10:11]
	s_wait_xcnt 0x0
	global_store_b64 v0, v[2:3], s[6:7] scope:SCOPE_SYS
.LBB0_2110:                             ;   Parent Loop BB0_2003 Depth=1
                                        ; =>  This Inner Loop Header: Depth=2
	global_load_b64 v[2:3], v0, s[4:5] scope:SCOPE_SYS
	s_wait_loadcnt 0x0
	v_cmp_ne_u64_e32 vcc_lo, s[10:11], v[2:3]
	s_cbranch_vccnz .LBB0_2110
; %bb.2111:                             ;   in Loop: Header=BB0_2003 Depth=1
	s_add_co_i32 s10, s8, 54
	s_mov_b32 s11, s9
	s_delay_alu instid0(SALU_CYCLE_1)
	v_mov_b64_e32 v[2:3], s[10:11]
	s_wait_xcnt 0x0
	global_store_b64 v0, v[2:3], s[6:7] scope:SCOPE_SYS
.LBB0_2112:                             ;   Parent Loop BB0_2003 Depth=1
                                        ; =>  This Inner Loop Header: Depth=2
	global_load_b64 v[2:3], v0, s[4:5] scope:SCOPE_SYS
	s_wait_loadcnt 0x0
	v_cmp_ne_u64_e32 vcc_lo, s[10:11], v[2:3]
	s_cbranch_vccnz .LBB0_2112
; %bb.2113:                             ;   in Loop: Header=BB0_2003 Depth=1
	s_add_co_i32 s10, s8, 55
	s_mov_b32 s11, s9
	s_delay_alu instid0(SALU_CYCLE_1)
	v_mov_b64_e32 v[2:3], s[10:11]
	s_wait_xcnt 0x0
	global_store_b64 v0, v[2:3], s[6:7] scope:SCOPE_SYS
.LBB0_2114:                             ;   Parent Loop BB0_2003 Depth=1
                                        ; =>  This Inner Loop Header: Depth=2
	global_load_b64 v[2:3], v0, s[4:5] scope:SCOPE_SYS
	s_wait_loadcnt 0x0
	v_cmp_ne_u64_e32 vcc_lo, s[10:11], v[2:3]
	s_cbranch_vccnz .LBB0_2114
; %bb.2115:                             ;   in Loop: Header=BB0_2003 Depth=1
	s_add_co_i32 s10, s8, 56
	s_mov_b32 s11, s9
	s_delay_alu instid0(SALU_CYCLE_1)
	v_mov_b64_e32 v[2:3], s[10:11]
	s_wait_xcnt 0x0
	global_store_b64 v0, v[2:3], s[6:7] scope:SCOPE_SYS
.LBB0_2116:                             ;   Parent Loop BB0_2003 Depth=1
                                        ; =>  This Inner Loop Header: Depth=2
	global_load_b64 v[2:3], v0, s[4:5] scope:SCOPE_SYS
	s_wait_loadcnt 0x0
	v_cmp_ne_u64_e32 vcc_lo, s[10:11], v[2:3]
	s_cbranch_vccnz .LBB0_2116
; %bb.2117:                             ;   in Loop: Header=BB0_2003 Depth=1
	s_add_co_i32 s10, s8, 57
	s_mov_b32 s11, s9
	s_delay_alu instid0(SALU_CYCLE_1)
	v_mov_b64_e32 v[2:3], s[10:11]
	s_wait_xcnt 0x0
	global_store_b64 v0, v[2:3], s[6:7] scope:SCOPE_SYS
.LBB0_2118:                             ;   Parent Loop BB0_2003 Depth=1
                                        ; =>  This Inner Loop Header: Depth=2
	global_load_b64 v[2:3], v0, s[4:5] scope:SCOPE_SYS
	s_wait_loadcnt 0x0
	v_cmp_ne_u64_e32 vcc_lo, s[10:11], v[2:3]
	s_cbranch_vccnz .LBB0_2118
; %bb.2119:                             ;   in Loop: Header=BB0_2003 Depth=1
	s_add_co_i32 s10, s8, 58
	s_mov_b32 s11, s9
	s_delay_alu instid0(SALU_CYCLE_1)
	v_mov_b64_e32 v[2:3], s[10:11]
	s_wait_xcnt 0x0
	global_store_b64 v0, v[2:3], s[6:7] scope:SCOPE_SYS
.LBB0_2120:                             ;   Parent Loop BB0_2003 Depth=1
                                        ; =>  This Inner Loop Header: Depth=2
	global_load_b64 v[2:3], v0, s[4:5] scope:SCOPE_SYS
	s_wait_loadcnt 0x0
	v_cmp_ne_u64_e32 vcc_lo, s[10:11], v[2:3]
	s_cbranch_vccnz .LBB0_2120
; %bb.2121:                             ;   in Loop: Header=BB0_2003 Depth=1
	s_add_co_i32 s10, s8, 59
	s_mov_b32 s11, s9
	s_delay_alu instid0(SALU_CYCLE_1)
	v_mov_b64_e32 v[2:3], s[10:11]
	s_wait_xcnt 0x0
	global_store_b64 v0, v[2:3], s[6:7] scope:SCOPE_SYS
.LBB0_2122:                             ;   Parent Loop BB0_2003 Depth=1
                                        ; =>  This Inner Loop Header: Depth=2
	global_load_b64 v[2:3], v0, s[4:5] scope:SCOPE_SYS
	s_wait_loadcnt 0x0
	v_cmp_ne_u64_e32 vcc_lo, s[10:11], v[2:3]
	s_cbranch_vccnz .LBB0_2122
; %bb.2123:                             ;   in Loop: Header=BB0_2003 Depth=1
	s_add_co_i32 s10, s8, 60
	s_mov_b32 s11, s9
	s_delay_alu instid0(SALU_CYCLE_1)
	v_mov_b64_e32 v[2:3], s[10:11]
	s_wait_xcnt 0x0
	global_store_b64 v0, v[2:3], s[6:7] scope:SCOPE_SYS
.LBB0_2124:                             ;   Parent Loop BB0_2003 Depth=1
                                        ; =>  This Inner Loop Header: Depth=2
	global_load_b64 v[2:3], v0, s[4:5] scope:SCOPE_SYS
	s_wait_loadcnt 0x0
	v_cmp_ne_u64_e32 vcc_lo, s[10:11], v[2:3]
	s_cbranch_vccnz .LBB0_2124
; %bb.2125:                             ;   in Loop: Header=BB0_2003 Depth=1
	s_add_co_i32 s10, s8, 61
	s_mov_b32 s11, s9
	s_delay_alu instid0(SALU_CYCLE_1)
	v_mov_b64_e32 v[2:3], s[10:11]
	s_wait_xcnt 0x0
	global_store_b64 v0, v[2:3], s[6:7] scope:SCOPE_SYS
.LBB0_2126:                             ;   Parent Loop BB0_2003 Depth=1
                                        ; =>  This Inner Loop Header: Depth=2
	global_load_b64 v[2:3], v0, s[4:5] scope:SCOPE_SYS
	s_wait_loadcnt 0x0
	v_cmp_ne_u64_e32 vcc_lo, s[10:11], v[2:3]
	s_cbranch_vccnz .LBB0_2126
; %bb.2127:                             ;   in Loop: Header=BB0_2003 Depth=1
	s_add_co_i32 s10, s8, 62
	s_mov_b32 s11, s9
	s_delay_alu instid0(SALU_CYCLE_1)
	v_mov_b64_e32 v[2:3], s[10:11]
	s_wait_xcnt 0x0
	global_store_b64 v0, v[2:3], s[6:7] scope:SCOPE_SYS
.LBB0_2128:                             ;   Parent Loop BB0_2003 Depth=1
                                        ; =>  This Inner Loop Header: Depth=2
	global_load_b64 v[2:3], v0, s[4:5] scope:SCOPE_SYS
	s_wait_loadcnt 0x0
	v_cmp_ne_u64_e32 vcc_lo, s[10:11], v[2:3]
	s_cbranch_vccnz .LBB0_2128
; %bb.2129:                             ;   in Loop: Header=BB0_2003 Depth=1
	s_add_co_i32 s10, s8, 63
	s_mov_b32 s11, s9
	s_delay_alu instid0(SALU_CYCLE_1)
	v_mov_b64_e32 v[2:3], s[10:11]
	s_wait_xcnt 0x0
	global_store_b64 v0, v[2:3], s[6:7] scope:SCOPE_SYS
.LBB0_2130:                             ;   Parent Loop BB0_2003 Depth=1
                                        ; =>  This Inner Loop Header: Depth=2
	global_load_b64 v[2:3], v0, s[4:5] scope:SCOPE_SYS
	s_wait_loadcnt 0x0
	v_cmp_ne_u64_e32 vcc_lo, s[10:11], v[2:3]
	s_cbranch_vccnz .LBB0_2130
; %bb.2131:                             ;   in Loop: Header=BB0_2003 Depth=1
	s_add_co_i32 s10, s8, 64
	s_mov_b32 s11, s9
	s_delay_alu instid0(SALU_CYCLE_1)
	v_mov_b64_e32 v[2:3], s[10:11]
	s_wait_xcnt 0x0
	global_store_b64 v0, v[2:3], s[6:7] scope:SCOPE_SYS
.LBB0_2132:                             ;   Parent Loop BB0_2003 Depth=1
                                        ; =>  This Inner Loop Header: Depth=2
	global_load_b64 v[2:3], v0, s[4:5] scope:SCOPE_SYS
	s_wait_loadcnt 0x0
	v_cmp_ne_u64_e32 vcc_lo, s[10:11], v[2:3]
	s_cbranch_vccnz .LBB0_2132
; %bb.2133:                             ;   in Loop: Header=BB0_2003 Depth=1
	s_add_co_i32 s10, s8, 0x41
	s_mov_b32 s11, s9
	s_delay_alu instid0(SALU_CYCLE_1)
	v_mov_b64_e32 v[2:3], s[10:11]
	s_wait_xcnt 0x0
	global_store_b64 v0, v[2:3], s[6:7] scope:SCOPE_SYS
.LBB0_2134:                             ;   Parent Loop BB0_2003 Depth=1
                                        ; =>  This Inner Loop Header: Depth=2
	global_load_b64 v[2:3], v0, s[4:5] scope:SCOPE_SYS
	s_wait_loadcnt 0x0
	v_cmp_ne_u64_e32 vcc_lo, s[10:11], v[2:3]
	s_cbranch_vccnz .LBB0_2134
; %bb.2135:                             ;   in Loop: Header=BB0_2003 Depth=1
	s_add_co_i32 s10, s8, 0x42
	s_mov_b32 s11, s9
	s_delay_alu instid0(SALU_CYCLE_1)
	v_mov_b64_e32 v[2:3], s[10:11]
	s_wait_xcnt 0x0
	global_store_b64 v0, v[2:3], s[6:7] scope:SCOPE_SYS
.LBB0_2136:                             ;   Parent Loop BB0_2003 Depth=1
                                        ; =>  This Inner Loop Header: Depth=2
	global_load_b64 v[2:3], v0, s[4:5] scope:SCOPE_SYS
	s_wait_loadcnt 0x0
	v_cmp_ne_u64_e32 vcc_lo, s[10:11], v[2:3]
	s_cbranch_vccnz .LBB0_2136
; %bb.2137:                             ;   in Loop: Header=BB0_2003 Depth=1
	s_add_co_i32 s10, s8, 0x43
	s_mov_b32 s11, s9
	s_delay_alu instid0(SALU_CYCLE_1)
	v_mov_b64_e32 v[2:3], s[10:11]
	s_wait_xcnt 0x0
	global_store_b64 v0, v[2:3], s[6:7] scope:SCOPE_SYS
.LBB0_2138:                             ;   Parent Loop BB0_2003 Depth=1
                                        ; =>  This Inner Loop Header: Depth=2
	global_load_b64 v[2:3], v0, s[4:5] scope:SCOPE_SYS
	s_wait_loadcnt 0x0
	v_cmp_ne_u64_e32 vcc_lo, s[10:11], v[2:3]
	s_cbranch_vccnz .LBB0_2138
; %bb.2139:                             ;   in Loop: Header=BB0_2003 Depth=1
	s_add_co_i32 s10, s8, 0x44
	s_mov_b32 s11, s9
	s_delay_alu instid0(SALU_CYCLE_1)
	v_mov_b64_e32 v[2:3], s[10:11]
	s_wait_xcnt 0x0
	global_store_b64 v0, v[2:3], s[6:7] scope:SCOPE_SYS
.LBB0_2140:                             ;   Parent Loop BB0_2003 Depth=1
                                        ; =>  This Inner Loop Header: Depth=2
	global_load_b64 v[2:3], v0, s[4:5] scope:SCOPE_SYS
	s_wait_loadcnt 0x0
	v_cmp_ne_u64_e32 vcc_lo, s[10:11], v[2:3]
	s_cbranch_vccnz .LBB0_2140
; %bb.2141:                             ;   in Loop: Header=BB0_2003 Depth=1
	s_add_co_i32 s10, s8, 0x45
	s_mov_b32 s11, s9
	s_delay_alu instid0(SALU_CYCLE_1)
	v_mov_b64_e32 v[2:3], s[10:11]
	s_wait_xcnt 0x0
	global_store_b64 v0, v[2:3], s[6:7] scope:SCOPE_SYS
.LBB0_2142:                             ;   Parent Loop BB0_2003 Depth=1
                                        ; =>  This Inner Loop Header: Depth=2
	global_load_b64 v[2:3], v0, s[4:5] scope:SCOPE_SYS
	s_wait_loadcnt 0x0
	v_cmp_ne_u64_e32 vcc_lo, s[10:11], v[2:3]
	s_cbranch_vccnz .LBB0_2142
; %bb.2143:                             ;   in Loop: Header=BB0_2003 Depth=1
	s_add_co_i32 s10, s8, 0x46
	s_mov_b32 s11, s9
	s_delay_alu instid0(SALU_CYCLE_1)
	v_mov_b64_e32 v[2:3], s[10:11]
	s_wait_xcnt 0x0
	global_store_b64 v0, v[2:3], s[6:7] scope:SCOPE_SYS
.LBB0_2144:                             ;   Parent Loop BB0_2003 Depth=1
                                        ; =>  This Inner Loop Header: Depth=2
	global_load_b64 v[2:3], v0, s[4:5] scope:SCOPE_SYS
	s_wait_loadcnt 0x0
	v_cmp_ne_u64_e32 vcc_lo, s[10:11], v[2:3]
	s_cbranch_vccnz .LBB0_2144
; %bb.2145:                             ;   in Loop: Header=BB0_2003 Depth=1
	s_add_co_i32 s10, s8, 0x47
	s_mov_b32 s11, s9
	s_delay_alu instid0(SALU_CYCLE_1)
	v_mov_b64_e32 v[2:3], s[10:11]
	s_wait_xcnt 0x0
	global_store_b64 v0, v[2:3], s[6:7] scope:SCOPE_SYS
.LBB0_2146:                             ;   Parent Loop BB0_2003 Depth=1
                                        ; =>  This Inner Loop Header: Depth=2
	global_load_b64 v[2:3], v0, s[4:5] scope:SCOPE_SYS
	s_wait_loadcnt 0x0
	v_cmp_ne_u64_e32 vcc_lo, s[10:11], v[2:3]
	s_cbranch_vccnz .LBB0_2146
; %bb.2147:                             ;   in Loop: Header=BB0_2003 Depth=1
	s_add_co_i32 s10, s8, 0x48
	s_mov_b32 s11, s9
	s_delay_alu instid0(SALU_CYCLE_1)
	v_mov_b64_e32 v[2:3], s[10:11]
	s_wait_xcnt 0x0
	global_store_b64 v0, v[2:3], s[6:7] scope:SCOPE_SYS
.LBB0_2148:                             ;   Parent Loop BB0_2003 Depth=1
                                        ; =>  This Inner Loop Header: Depth=2
	global_load_b64 v[2:3], v0, s[4:5] scope:SCOPE_SYS
	s_wait_loadcnt 0x0
	v_cmp_ne_u64_e32 vcc_lo, s[10:11], v[2:3]
	s_cbranch_vccnz .LBB0_2148
; %bb.2149:                             ;   in Loop: Header=BB0_2003 Depth=1
	s_add_co_i32 s10, s8, 0x49
	s_mov_b32 s11, s9
	s_delay_alu instid0(SALU_CYCLE_1)
	v_mov_b64_e32 v[2:3], s[10:11]
	s_wait_xcnt 0x0
	global_store_b64 v0, v[2:3], s[6:7] scope:SCOPE_SYS
.LBB0_2150:                             ;   Parent Loop BB0_2003 Depth=1
                                        ; =>  This Inner Loop Header: Depth=2
	global_load_b64 v[2:3], v0, s[4:5] scope:SCOPE_SYS
	s_wait_loadcnt 0x0
	v_cmp_ne_u64_e32 vcc_lo, s[10:11], v[2:3]
	s_cbranch_vccnz .LBB0_2150
; %bb.2151:                             ;   in Loop: Header=BB0_2003 Depth=1
	s_add_co_i32 s10, s8, 0x4a
	s_mov_b32 s11, s9
	s_delay_alu instid0(SALU_CYCLE_1)
	v_mov_b64_e32 v[2:3], s[10:11]
	s_wait_xcnt 0x0
	global_store_b64 v0, v[2:3], s[6:7] scope:SCOPE_SYS
.LBB0_2152:                             ;   Parent Loop BB0_2003 Depth=1
                                        ; =>  This Inner Loop Header: Depth=2
	global_load_b64 v[2:3], v0, s[4:5] scope:SCOPE_SYS
	s_wait_loadcnt 0x0
	v_cmp_ne_u64_e32 vcc_lo, s[10:11], v[2:3]
	s_cbranch_vccnz .LBB0_2152
; %bb.2153:                             ;   in Loop: Header=BB0_2003 Depth=1
	s_add_co_i32 s10, s8, 0x4b
	s_mov_b32 s11, s9
	s_delay_alu instid0(SALU_CYCLE_1)
	v_mov_b64_e32 v[2:3], s[10:11]
	s_wait_xcnt 0x0
	global_store_b64 v0, v[2:3], s[6:7] scope:SCOPE_SYS
.LBB0_2154:                             ;   Parent Loop BB0_2003 Depth=1
                                        ; =>  This Inner Loop Header: Depth=2
	global_load_b64 v[2:3], v0, s[4:5] scope:SCOPE_SYS
	s_wait_loadcnt 0x0
	v_cmp_ne_u64_e32 vcc_lo, s[10:11], v[2:3]
	s_cbranch_vccnz .LBB0_2154
; %bb.2155:                             ;   in Loop: Header=BB0_2003 Depth=1
	s_add_co_i32 s10, s8, 0x4c
	s_mov_b32 s11, s9
	s_delay_alu instid0(SALU_CYCLE_1)
	v_mov_b64_e32 v[2:3], s[10:11]
	s_wait_xcnt 0x0
	global_store_b64 v0, v[2:3], s[6:7] scope:SCOPE_SYS
.LBB0_2156:                             ;   Parent Loop BB0_2003 Depth=1
                                        ; =>  This Inner Loop Header: Depth=2
	global_load_b64 v[2:3], v0, s[4:5] scope:SCOPE_SYS
	s_wait_loadcnt 0x0
	v_cmp_ne_u64_e32 vcc_lo, s[10:11], v[2:3]
	s_cbranch_vccnz .LBB0_2156
; %bb.2157:                             ;   in Loop: Header=BB0_2003 Depth=1
	s_add_co_i32 s10, s8, 0x4d
	s_mov_b32 s11, s9
	s_delay_alu instid0(SALU_CYCLE_1)
	v_mov_b64_e32 v[2:3], s[10:11]
	s_wait_xcnt 0x0
	global_store_b64 v0, v[2:3], s[6:7] scope:SCOPE_SYS
.LBB0_2158:                             ;   Parent Loop BB0_2003 Depth=1
                                        ; =>  This Inner Loop Header: Depth=2
	global_load_b64 v[2:3], v0, s[4:5] scope:SCOPE_SYS
	s_wait_loadcnt 0x0
	v_cmp_ne_u64_e32 vcc_lo, s[10:11], v[2:3]
	s_cbranch_vccnz .LBB0_2158
; %bb.2159:                             ;   in Loop: Header=BB0_2003 Depth=1
	s_add_co_i32 s10, s8, 0x4e
	s_mov_b32 s11, s9
	s_delay_alu instid0(SALU_CYCLE_1)
	v_mov_b64_e32 v[2:3], s[10:11]
	s_wait_xcnt 0x0
	global_store_b64 v0, v[2:3], s[6:7] scope:SCOPE_SYS
.LBB0_2160:                             ;   Parent Loop BB0_2003 Depth=1
                                        ; =>  This Inner Loop Header: Depth=2
	global_load_b64 v[2:3], v0, s[4:5] scope:SCOPE_SYS
	s_wait_loadcnt 0x0
	v_cmp_ne_u64_e32 vcc_lo, s[10:11], v[2:3]
	s_cbranch_vccnz .LBB0_2160
; %bb.2161:                             ;   in Loop: Header=BB0_2003 Depth=1
	s_add_co_i32 s10, s8, 0x4f
	s_mov_b32 s11, s9
	s_delay_alu instid0(SALU_CYCLE_1)
	v_mov_b64_e32 v[2:3], s[10:11]
	s_wait_xcnt 0x0
	global_store_b64 v0, v[2:3], s[6:7] scope:SCOPE_SYS
.LBB0_2162:                             ;   Parent Loop BB0_2003 Depth=1
                                        ; =>  This Inner Loop Header: Depth=2
	global_load_b64 v[2:3], v0, s[4:5] scope:SCOPE_SYS
	s_wait_loadcnt 0x0
	v_cmp_ne_u64_e32 vcc_lo, s[10:11], v[2:3]
	s_cbranch_vccnz .LBB0_2162
; %bb.2163:                             ;   in Loop: Header=BB0_2003 Depth=1
	s_add_co_i32 s10, s8, 0x50
	s_mov_b32 s11, s9
	s_delay_alu instid0(SALU_CYCLE_1)
	v_mov_b64_e32 v[2:3], s[10:11]
	s_wait_xcnt 0x0
	global_store_b64 v0, v[2:3], s[6:7] scope:SCOPE_SYS
.LBB0_2164:                             ;   Parent Loop BB0_2003 Depth=1
                                        ; =>  This Inner Loop Header: Depth=2
	global_load_b64 v[2:3], v0, s[4:5] scope:SCOPE_SYS
	s_wait_loadcnt 0x0
	v_cmp_ne_u64_e32 vcc_lo, s[10:11], v[2:3]
	s_cbranch_vccnz .LBB0_2164
; %bb.2165:                             ;   in Loop: Header=BB0_2003 Depth=1
	s_add_co_i32 s10, s8, 0x51
	s_mov_b32 s11, s9
	s_delay_alu instid0(SALU_CYCLE_1)
	v_mov_b64_e32 v[2:3], s[10:11]
	s_wait_xcnt 0x0
	global_store_b64 v0, v[2:3], s[6:7] scope:SCOPE_SYS
.LBB0_2166:                             ;   Parent Loop BB0_2003 Depth=1
                                        ; =>  This Inner Loop Header: Depth=2
	global_load_b64 v[2:3], v0, s[4:5] scope:SCOPE_SYS
	s_wait_loadcnt 0x0
	v_cmp_ne_u64_e32 vcc_lo, s[10:11], v[2:3]
	s_cbranch_vccnz .LBB0_2166
; %bb.2167:                             ;   in Loop: Header=BB0_2003 Depth=1
	s_add_co_i32 s10, s8, 0x52
	s_mov_b32 s11, s9
	s_delay_alu instid0(SALU_CYCLE_1)
	v_mov_b64_e32 v[2:3], s[10:11]
	s_wait_xcnt 0x0
	global_store_b64 v0, v[2:3], s[6:7] scope:SCOPE_SYS
.LBB0_2168:                             ;   Parent Loop BB0_2003 Depth=1
                                        ; =>  This Inner Loop Header: Depth=2
	global_load_b64 v[2:3], v0, s[4:5] scope:SCOPE_SYS
	s_wait_loadcnt 0x0
	v_cmp_ne_u64_e32 vcc_lo, s[10:11], v[2:3]
	s_cbranch_vccnz .LBB0_2168
; %bb.2169:                             ;   in Loop: Header=BB0_2003 Depth=1
	s_add_co_i32 s10, s8, 0x53
	s_mov_b32 s11, s9
	s_delay_alu instid0(SALU_CYCLE_1)
	v_mov_b64_e32 v[2:3], s[10:11]
	s_wait_xcnt 0x0
	global_store_b64 v0, v[2:3], s[6:7] scope:SCOPE_SYS
.LBB0_2170:                             ;   Parent Loop BB0_2003 Depth=1
                                        ; =>  This Inner Loop Header: Depth=2
	global_load_b64 v[2:3], v0, s[4:5] scope:SCOPE_SYS
	s_wait_loadcnt 0x0
	v_cmp_ne_u64_e32 vcc_lo, s[10:11], v[2:3]
	s_cbranch_vccnz .LBB0_2170
; %bb.2171:                             ;   in Loop: Header=BB0_2003 Depth=1
	s_add_co_i32 s10, s8, 0x54
	s_mov_b32 s11, s9
	s_delay_alu instid0(SALU_CYCLE_1)
	v_mov_b64_e32 v[2:3], s[10:11]
	s_wait_xcnt 0x0
	global_store_b64 v0, v[2:3], s[6:7] scope:SCOPE_SYS
.LBB0_2172:                             ;   Parent Loop BB0_2003 Depth=1
                                        ; =>  This Inner Loop Header: Depth=2
	global_load_b64 v[2:3], v0, s[4:5] scope:SCOPE_SYS
	s_wait_loadcnt 0x0
	v_cmp_ne_u64_e32 vcc_lo, s[10:11], v[2:3]
	s_cbranch_vccnz .LBB0_2172
; %bb.2173:                             ;   in Loop: Header=BB0_2003 Depth=1
	s_add_co_i32 s10, s8, 0x55
	s_mov_b32 s11, s9
	s_delay_alu instid0(SALU_CYCLE_1)
	v_mov_b64_e32 v[2:3], s[10:11]
	s_wait_xcnt 0x0
	global_store_b64 v0, v[2:3], s[6:7] scope:SCOPE_SYS
.LBB0_2174:                             ;   Parent Loop BB0_2003 Depth=1
                                        ; =>  This Inner Loop Header: Depth=2
	global_load_b64 v[2:3], v0, s[4:5] scope:SCOPE_SYS
	s_wait_loadcnt 0x0
	v_cmp_ne_u64_e32 vcc_lo, s[10:11], v[2:3]
	s_cbranch_vccnz .LBB0_2174
; %bb.2175:                             ;   in Loop: Header=BB0_2003 Depth=1
	s_add_co_i32 s10, s8, 0x56
	s_mov_b32 s11, s9
	s_delay_alu instid0(SALU_CYCLE_1)
	v_mov_b64_e32 v[2:3], s[10:11]
	s_wait_xcnt 0x0
	global_store_b64 v0, v[2:3], s[6:7] scope:SCOPE_SYS
.LBB0_2176:                             ;   Parent Loop BB0_2003 Depth=1
                                        ; =>  This Inner Loop Header: Depth=2
	global_load_b64 v[2:3], v0, s[4:5] scope:SCOPE_SYS
	s_wait_loadcnt 0x0
	v_cmp_ne_u64_e32 vcc_lo, s[10:11], v[2:3]
	s_cbranch_vccnz .LBB0_2176
; %bb.2177:                             ;   in Loop: Header=BB0_2003 Depth=1
	s_add_co_i32 s10, s8, 0x57
	s_mov_b32 s11, s9
	s_delay_alu instid0(SALU_CYCLE_1)
	v_mov_b64_e32 v[2:3], s[10:11]
	s_wait_xcnt 0x0
	global_store_b64 v0, v[2:3], s[6:7] scope:SCOPE_SYS
.LBB0_2178:                             ;   Parent Loop BB0_2003 Depth=1
                                        ; =>  This Inner Loop Header: Depth=2
	global_load_b64 v[2:3], v0, s[4:5] scope:SCOPE_SYS
	s_wait_loadcnt 0x0
	v_cmp_ne_u64_e32 vcc_lo, s[10:11], v[2:3]
	s_cbranch_vccnz .LBB0_2178
; %bb.2179:                             ;   in Loop: Header=BB0_2003 Depth=1
	s_add_co_i32 s10, s8, 0x58
	s_mov_b32 s11, s9
	s_delay_alu instid0(SALU_CYCLE_1)
	v_mov_b64_e32 v[2:3], s[10:11]
	s_wait_xcnt 0x0
	global_store_b64 v0, v[2:3], s[6:7] scope:SCOPE_SYS
.LBB0_2180:                             ;   Parent Loop BB0_2003 Depth=1
                                        ; =>  This Inner Loop Header: Depth=2
	global_load_b64 v[2:3], v0, s[4:5] scope:SCOPE_SYS
	s_wait_loadcnt 0x0
	v_cmp_ne_u64_e32 vcc_lo, s[10:11], v[2:3]
	s_cbranch_vccnz .LBB0_2180
; %bb.2181:                             ;   in Loop: Header=BB0_2003 Depth=1
	s_add_co_i32 s10, s8, 0x59
	s_mov_b32 s11, s9
	s_delay_alu instid0(SALU_CYCLE_1)
	v_mov_b64_e32 v[2:3], s[10:11]
	s_wait_xcnt 0x0
	global_store_b64 v0, v[2:3], s[6:7] scope:SCOPE_SYS
.LBB0_2182:                             ;   Parent Loop BB0_2003 Depth=1
                                        ; =>  This Inner Loop Header: Depth=2
	global_load_b64 v[2:3], v0, s[4:5] scope:SCOPE_SYS
	s_wait_loadcnt 0x0
	v_cmp_ne_u64_e32 vcc_lo, s[10:11], v[2:3]
	s_cbranch_vccnz .LBB0_2182
; %bb.2183:                             ;   in Loop: Header=BB0_2003 Depth=1
	s_add_co_i32 s10, s8, 0x5a
	s_mov_b32 s11, s9
	s_delay_alu instid0(SALU_CYCLE_1)
	v_mov_b64_e32 v[2:3], s[10:11]
	s_wait_xcnt 0x0
	global_store_b64 v0, v[2:3], s[6:7] scope:SCOPE_SYS
.LBB0_2184:                             ;   Parent Loop BB0_2003 Depth=1
                                        ; =>  This Inner Loop Header: Depth=2
	global_load_b64 v[2:3], v0, s[4:5] scope:SCOPE_SYS
	s_wait_loadcnt 0x0
	v_cmp_ne_u64_e32 vcc_lo, s[10:11], v[2:3]
	s_cbranch_vccnz .LBB0_2184
; %bb.2185:                             ;   in Loop: Header=BB0_2003 Depth=1
	s_add_co_i32 s10, s8, 0x5b
	s_mov_b32 s11, s9
	s_delay_alu instid0(SALU_CYCLE_1)
	v_mov_b64_e32 v[2:3], s[10:11]
	s_wait_xcnt 0x0
	global_store_b64 v0, v[2:3], s[6:7] scope:SCOPE_SYS
.LBB0_2186:                             ;   Parent Loop BB0_2003 Depth=1
                                        ; =>  This Inner Loop Header: Depth=2
	global_load_b64 v[2:3], v0, s[4:5] scope:SCOPE_SYS
	s_wait_loadcnt 0x0
	v_cmp_ne_u64_e32 vcc_lo, s[10:11], v[2:3]
	s_cbranch_vccnz .LBB0_2186
; %bb.2187:                             ;   in Loop: Header=BB0_2003 Depth=1
	s_add_co_i32 s10, s8, 0x5c
	s_mov_b32 s11, s9
	s_delay_alu instid0(SALU_CYCLE_1)
	v_mov_b64_e32 v[2:3], s[10:11]
	s_wait_xcnt 0x0
	global_store_b64 v0, v[2:3], s[6:7] scope:SCOPE_SYS
.LBB0_2188:                             ;   Parent Loop BB0_2003 Depth=1
                                        ; =>  This Inner Loop Header: Depth=2
	global_load_b64 v[2:3], v0, s[4:5] scope:SCOPE_SYS
	s_wait_loadcnt 0x0
	v_cmp_ne_u64_e32 vcc_lo, s[10:11], v[2:3]
	s_cbranch_vccnz .LBB0_2188
; %bb.2189:                             ;   in Loop: Header=BB0_2003 Depth=1
	s_add_co_i32 s10, s8, 0x5d
	s_mov_b32 s11, s9
	s_delay_alu instid0(SALU_CYCLE_1)
	v_mov_b64_e32 v[2:3], s[10:11]
	s_wait_xcnt 0x0
	global_store_b64 v0, v[2:3], s[6:7] scope:SCOPE_SYS
.LBB0_2190:                             ;   Parent Loop BB0_2003 Depth=1
                                        ; =>  This Inner Loop Header: Depth=2
	global_load_b64 v[2:3], v0, s[4:5] scope:SCOPE_SYS
	s_wait_loadcnt 0x0
	v_cmp_ne_u64_e32 vcc_lo, s[10:11], v[2:3]
	s_cbranch_vccnz .LBB0_2190
; %bb.2191:                             ;   in Loop: Header=BB0_2003 Depth=1
	s_add_co_i32 s10, s8, 0x5e
	s_mov_b32 s11, s9
	s_delay_alu instid0(SALU_CYCLE_1)
	v_mov_b64_e32 v[2:3], s[10:11]
	s_wait_xcnt 0x0
	global_store_b64 v0, v[2:3], s[6:7] scope:SCOPE_SYS
.LBB0_2192:                             ;   Parent Loop BB0_2003 Depth=1
                                        ; =>  This Inner Loop Header: Depth=2
	global_load_b64 v[2:3], v0, s[4:5] scope:SCOPE_SYS
	s_wait_loadcnt 0x0
	v_cmp_ne_u64_e32 vcc_lo, s[10:11], v[2:3]
	s_cbranch_vccnz .LBB0_2192
; %bb.2193:                             ;   in Loop: Header=BB0_2003 Depth=1
	s_add_co_i32 s10, s8, 0x5f
	s_mov_b32 s11, s9
	s_delay_alu instid0(SALU_CYCLE_1)
	v_mov_b64_e32 v[2:3], s[10:11]
	s_wait_xcnt 0x0
	global_store_b64 v0, v[2:3], s[6:7] scope:SCOPE_SYS
.LBB0_2194:                             ;   Parent Loop BB0_2003 Depth=1
                                        ; =>  This Inner Loop Header: Depth=2
	global_load_b64 v[2:3], v0, s[4:5] scope:SCOPE_SYS
	s_wait_loadcnt 0x0
	v_cmp_ne_u64_e32 vcc_lo, s[10:11], v[2:3]
	s_cbranch_vccnz .LBB0_2194
; %bb.2195:                             ;   in Loop: Header=BB0_2003 Depth=1
	s_add_co_i32 s10, s8, 0x60
	s_mov_b32 s11, s9
	s_delay_alu instid0(SALU_CYCLE_1)
	v_mov_b64_e32 v[2:3], s[10:11]
	s_wait_xcnt 0x0
	global_store_b64 v0, v[2:3], s[6:7] scope:SCOPE_SYS
.LBB0_2196:                             ;   Parent Loop BB0_2003 Depth=1
                                        ; =>  This Inner Loop Header: Depth=2
	global_load_b64 v[2:3], v0, s[4:5] scope:SCOPE_SYS
	s_wait_loadcnt 0x0
	v_cmp_ne_u64_e32 vcc_lo, s[10:11], v[2:3]
	s_cbranch_vccnz .LBB0_2196
; %bb.2197:                             ;   in Loop: Header=BB0_2003 Depth=1
	s_add_co_i32 s10, s8, 0x61
	s_mov_b32 s11, s9
	s_delay_alu instid0(SALU_CYCLE_1)
	v_mov_b64_e32 v[2:3], s[10:11]
	s_wait_xcnt 0x0
	global_store_b64 v0, v[2:3], s[6:7] scope:SCOPE_SYS
.LBB0_2198:                             ;   Parent Loop BB0_2003 Depth=1
                                        ; =>  This Inner Loop Header: Depth=2
	global_load_b64 v[2:3], v0, s[4:5] scope:SCOPE_SYS
	s_wait_loadcnt 0x0
	v_cmp_ne_u64_e32 vcc_lo, s[10:11], v[2:3]
	s_cbranch_vccnz .LBB0_2198
; %bb.2199:                             ;   in Loop: Header=BB0_2003 Depth=1
	s_add_co_i32 s10, s8, 0x62
	s_mov_b32 s11, s9
	s_delay_alu instid0(SALU_CYCLE_1)
	v_mov_b64_e32 v[2:3], s[10:11]
	s_wait_xcnt 0x0
	global_store_b64 v0, v[2:3], s[6:7] scope:SCOPE_SYS
.LBB0_2200:                             ;   Parent Loop BB0_2003 Depth=1
                                        ; =>  This Inner Loop Header: Depth=2
	global_load_b64 v[2:3], v0, s[4:5] scope:SCOPE_SYS
	s_wait_loadcnt 0x0
	v_cmp_ne_u64_e32 vcc_lo, s[10:11], v[2:3]
	s_cbranch_vccnz .LBB0_2200
; %bb.2201:                             ;   in Loop: Header=BB0_2003 Depth=1
	s_add_co_i32 s10, s8, 0x63
	s_mov_b32 s11, s9
	s_delay_alu instid0(SALU_CYCLE_1)
	v_mov_b64_e32 v[2:3], s[10:11]
	s_wait_xcnt 0x0
	global_store_b64 v0, v[2:3], s[6:7] scope:SCOPE_SYS
.LBB0_2202:                             ;   Parent Loop BB0_2003 Depth=1
                                        ; =>  This Inner Loop Header: Depth=2
	global_load_b64 v[2:3], v0, s[4:5] scope:SCOPE_SYS
	s_wait_loadcnt 0x0
	v_cmp_ne_u64_e32 vcc_lo, s[10:11], v[2:3]
	s_cbranch_vccnz .LBB0_2202
; %bb.2203:                             ;   in Loop: Header=BB0_2003 Depth=1
	s_add_co_i32 s10, s8, 0x64
	s_mov_b32 s11, s9
	s_delay_alu instid0(SALU_CYCLE_1)
	v_mov_b64_e32 v[2:3], s[10:11]
	s_wait_xcnt 0x0
	global_store_b64 v0, v[2:3], s[6:7] scope:SCOPE_SYS
.LBB0_2204:                             ;   Parent Loop BB0_2003 Depth=1
                                        ; =>  This Inner Loop Header: Depth=2
	global_load_b64 v[2:3], v0, s[4:5] scope:SCOPE_SYS
	s_wait_loadcnt 0x0
	v_cmp_ne_u64_e32 vcc_lo, s[10:11], v[2:3]
	s_cbranch_vccnz .LBB0_2204
; %bb.2205:                             ;   in Loop: Header=BB0_2003 Depth=1
	s_add_co_i32 s10, s8, 0x65
	s_mov_b32 s11, s9
	s_delay_alu instid0(SALU_CYCLE_1)
	v_mov_b64_e32 v[2:3], s[10:11]
	s_wait_xcnt 0x0
	global_store_b64 v0, v[2:3], s[6:7] scope:SCOPE_SYS
.LBB0_2206:                             ;   Parent Loop BB0_2003 Depth=1
                                        ; =>  This Inner Loop Header: Depth=2
	global_load_b64 v[2:3], v0, s[4:5] scope:SCOPE_SYS
	s_wait_loadcnt 0x0
	v_cmp_ne_u64_e32 vcc_lo, s[10:11], v[2:3]
	s_cbranch_vccnz .LBB0_2206
; %bb.2207:                             ;   in Loop: Header=BB0_2003 Depth=1
	s_add_co_i32 s10, s8, 0x66
	s_mov_b32 s11, s9
	s_delay_alu instid0(SALU_CYCLE_1)
	v_mov_b64_e32 v[2:3], s[10:11]
	s_wait_xcnt 0x0
	global_store_b64 v0, v[2:3], s[6:7] scope:SCOPE_SYS
.LBB0_2208:                             ;   Parent Loop BB0_2003 Depth=1
                                        ; =>  This Inner Loop Header: Depth=2
	global_load_b64 v[2:3], v0, s[4:5] scope:SCOPE_SYS
	s_wait_loadcnt 0x0
	v_cmp_ne_u64_e32 vcc_lo, s[10:11], v[2:3]
	s_cbranch_vccnz .LBB0_2208
; %bb.2209:                             ;   in Loop: Header=BB0_2003 Depth=1
	s_add_co_i32 s10, s8, 0x67
	s_mov_b32 s11, s9
	s_delay_alu instid0(SALU_CYCLE_1)
	v_mov_b64_e32 v[2:3], s[10:11]
	s_wait_xcnt 0x0
	global_store_b64 v0, v[2:3], s[6:7] scope:SCOPE_SYS
.LBB0_2210:                             ;   Parent Loop BB0_2003 Depth=1
                                        ; =>  This Inner Loop Header: Depth=2
	global_load_b64 v[2:3], v0, s[4:5] scope:SCOPE_SYS
	s_wait_loadcnt 0x0
	v_cmp_ne_u64_e32 vcc_lo, s[10:11], v[2:3]
	s_cbranch_vccnz .LBB0_2210
; %bb.2211:                             ;   in Loop: Header=BB0_2003 Depth=1
	s_add_co_i32 s10, s8, 0x68
	s_mov_b32 s11, s9
	s_delay_alu instid0(SALU_CYCLE_1)
	v_mov_b64_e32 v[2:3], s[10:11]
	s_wait_xcnt 0x0
	global_store_b64 v0, v[2:3], s[6:7] scope:SCOPE_SYS
.LBB0_2212:                             ;   Parent Loop BB0_2003 Depth=1
                                        ; =>  This Inner Loop Header: Depth=2
	global_load_b64 v[2:3], v0, s[4:5] scope:SCOPE_SYS
	s_wait_loadcnt 0x0
	v_cmp_ne_u64_e32 vcc_lo, s[10:11], v[2:3]
	s_cbranch_vccnz .LBB0_2212
; %bb.2213:                             ;   in Loop: Header=BB0_2003 Depth=1
	s_add_co_i32 s10, s8, 0x69
	s_mov_b32 s11, s9
	s_delay_alu instid0(SALU_CYCLE_1)
	v_mov_b64_e32 v[2:3], s[10:11]
	s_wait_xcnt 0x0
	global_store_b64 v0, v[2:3], s[6:7] scope:SCOPE_SYS
.LBB0_2214:                             ;   Parent Loop BB0_2003 Depth=1
                                        ; =>  This Inner Loop Header: Depth=2
	global_load_b64 v[2:3], v0, s[4:5] scope:SCOPE_SYS
	s_wait_loadcnt 0x0
	v_cmp_ne_u64_e32 vcc_lo, s[10:11], v[2:3]
	s_cbranch_vccnz .LBB0_2214
; %bb.2215:                             ;   in Loop: Header=BB0_2003 Depth=1
	s_add_co_i32 s10, s8, 0x6a
	s_mov_b32 s11, s9
	s_delay_alu instid0(SALU_CYCLE_1)
	v_mov_b64_e32 v[2:3], s[10:11]
	s_wait_xcnt 0x0
	global_store_b64 v0, v[2:3], s[6:7] scope:SCOPE_SYS
.LBB0_2216:                             ;   Parent Loop BB0_2003 Depth=1
                                        ; =>  This Inner Loop Header: Depth=2
	global_load_b64 v[2:3], v0, s[4:5] scope:SCOPE_SYS
	s_wait_loadcnt 0x0
	v_cmp_ne_u64_e32 vcc_lo, s[10:11], v[2:3]
	s_cbranch_vccnz .LBB0_2216
; %bb.2217:                             ;   in Loop: Header=BB0_2003 Depth=1
	s_add_co_i32 s10, s8, 0x6b
	s_mov_b32 s11, s9
	s_delay_alu instid0(SALU_CYCLE_1)
	v_mov_b64_e32 v[2:3], s[10:11]
	s_wait_xcnt 0x0
	global_store_b64 v0, v[2:3], s[6:7] scope:SCOPE_SYS
.LBB0_2218:                             ;   Parent Loop BB0_2003 Depth=1
                                        ; =>  This Inner Loop Header: Depth=2
	global_load_b64 v[2:3], v0, s[4:5] scope:SCOPE_SYS
	s_wait_loadcnt 0x0
	v_cmp_ne_u64_e32 vcc_lo, s[10:11], v[2:3]
	s_cbranch_vccnz .LBB0_2218
; %bb.2219:                             ;   in Loop: Header=BB0_2003 Depth=1
	s_add_co_i32 s10, s8, 0x6c
	s_mov_b32 s11, s9
	s_delay_alu instid0(SALU_CYCLE_1)
	v_mov_b64_e32 v[2:3], s[10:11]
	s_wait_xcnt 0x0
	global_store_b64 v0, v[2:3], s[6:7] scope:SCOPE_SYS
.LBB0_2220:                             ;   Parent Loop BB0_2003 Depth=1
                                        ; =>  This Inner Loop Header: Depth=2
	global_load_b64 v[2:3], v0, s[4:5] scope:SCOPE_SYS
	s_wait_loadcnt 0x0
	v_cmp_ne_u64_e32 vcc_lo, s[10:11], v[2:3]
	s_cbranch_vccnz .LBB0_2220
; %bb.2221:                             ;   in Loop: Header=BB0_2003 Depth=1
	s_add_co_i32 s10, s8, 0x6d
	s_mov_b32 s11, s9
	s_delay_alu instid0(SALU_CYCLE_1)
	v_mov_b64_e32 v[2:3], s[10:11]
	s_wait_xcnt 0x0
	global_store_b64 v0, v[2:3], s[6:7] scope:SCOPE_SYS
.LBB0_2222:                             ;   Parent Loop BB0_2003 Depth=1
                                        ; =>  This Inner Loop Header: Depth=2
	global_load_b64 v[2:3], v0, s[4:5] scope:SCOPE_SYS
	s_wait_loadcnt 0x0
	v_cmp_ne_u64_e32 vcc_lo, s[10:11], v[2:3]
	s_cbranch_vccnz .LBB0_2222
; %bb.2223:                             ;   in Loop: Header=BB0_2003 Depth=1
	s_add_co_i32 s10, s8, 0x6e
	s_mov_b32 s11, s9
	s_delay_alu instid0(SALU_CYCLE_1)
	v_mov_b64_e32 v[2:3], s[10:11]
	s_wait_xcnt 0x0
	global_store_b64 v0, v[2:3], s[6:7] scope:SCOPE_SYS
.LBB0_2224:                             ;   Parent Loop BB0_2003 Depth=1
                                        ; =>  This Inner Loop Header: Depth=2
	global_load_b64 v[2:3], v0, s[4:5] scope:SCOPE_SYS
	s_wait_loadcnt 0x0
	v_cmp_ne_u64_e32 vcc_lo, s[10:11], v[2:3]
	s_cbranch_vccnz .LBB0_2224
; %bb.2225:                             ;   in Loop: Header=BB0_2003 Depth=1
	s_add_co_i32 s10, s8, 0x6f
	s_mov_b32 s11, s9
	s_delay_alu instid0(SALU_CYCLE_1)
	v_mov_b64_e32 v[2:3], s[10:11]
	s_wait_xcnt 0x0
	global_store_b64 v0, v[2:3], s[6:7] scope:SCOPE_SYS
.LBB0_2226:                             ;   Parent Loop BB0_2003 Depth=1
                                        ; =>  This Inner Loop Header: Depth=2
	global_load_b64 v[2:3], v0, s[4:5] scope:SCOPE_SYS
	s_wait_loadcnt 0x0
	v_cmp_ne_u64_e32 vcc_lo, s[10:11], v[2:3]
	s_cbranch_vccnz .LBB0_2226
; %bb.2227:                             ;   in Loop: Header=BB0_2003 Depth=1
	s_add_co_i32 s10, s8, 0x70
	s_mov_b32 s11, s9
	s_delay_alu instid0(SALU_CYCLE_1)
	v_mov_b64_e32 v[2:3], s[10:11]
	s_wait_xcnt 0x0
	global_store_b64 v0, v[2:3], s[6:7] scope:SCOPE_SYS
.LBB0_2228:                             ;   Parent Loop BB0_2003 Depth=1
                                        ; =>  This Inner Loop Header: Depth=2
	global_load_b64 v[2:3], v0, s[4:5] scope:SCOPE_SYS
	s_wait_loadcnt 0x0
	v_cmp_ne_u64_e32 vcc_lo, s[10:11], v[2:3]
	s_cbranch_vccnz .LBB0_2228
; %bb.2229:                             ;   in Loop: Header=BB0_2003 Depth=1
	s_add_co_i32 s10, s8, 0x71
	s_mov_b32 s11, s9
	s_delay_alu instid0(SALU_CYCLE_1)
	v_mov_b64_e32 v[2:3], s[10:11]
	s_wait_xcnt 0x0
	global_store_b64 v0, v[2:3], s[6:7] scope:SCOPE_SYS
.LBB0_2230:                             ;   Parent Loop BB0_2003 Depth=1
                                        ; =>  This Inner Loop Header: Depth=2
	global_load_b64 v[2:3], v0, s[4:5] scope:SCOPE_SYS
	s_wait_loadcnt 0x0
	v_cmp_ne_u64_e32 vcc_lo, s[10:11], v[2:3]
	s_cbranch_vccnz .LBB0_2230
; %bb.2231:                             ;   in Loop: Header=BB0_2003 Depth=1
	s_add_co_i32 s10, s8, 0x72
	s_mov_b32 s11, s9
	s_delay_alu instid0(SALU_CYCLE_1)
	v_mov_b64_e32 v[2:3], s[10:11]
	s_wait_xcnt 0x0
	global_store_b64 v0, v[2:3], s[6:7] scope:SCOPE_SYS
.LBB0_2232:                             ;   Parent Loop BB0_2003 Depth=1
                                        ; =>  This Inner Loop Header: Depth=2
	global_load_b64 v[2:3], v0, s[4:5] scope:SCOPE_SYS
	s_wait_loadcnt 0x0
	v_cmp_ne_u64_e32 vcc_lo, s[10:11], v[2:3]
	s_cbranch_vccnz .LBB0_2232
; %bb.2233:                             ;   in Loop: Header=BB0_2003 Depth=1
	s_add_co_i32 s10, s8, 0x73
	s_mov_b32 s11, s9
	s_delay_alu instid0(SALU_CYCLE_1)
	v_mov_b64_e32 v[2:3], s[10:11]
	s_wait_xcnt 0x0
	global_store_b64 v0, v[2:3], s[6:7] scope:SCOPE_SYS
.LBB0_2234:                             ;   Parent Loop BB0_2003 Depth=1
                                        ; =>  This Inner Loop Header: Depth=2
	global_load_b64 v[2:3], v0, s[4:5] scope:SCOPE_SYS
	s_wait_loadcnt 0x0
	v_cmp_ne_u64_e32 vcc_lo, s[10:11], v[2:3]
	s_cbranch_vccnz .LBB0_2234
; %bb.2235:                             ;   in Loop: Header=BB0_2003 Depth=1
	s_add_co_i32 s10, s8, 0x74
	s_mov_b32 s11, s9
	s_delay_alu instid0(SALU_CYCLE_1)
	v_mov_b64_e32 v[2:3], s[10:11]
	s_wait_xcnt 0x0
	global_store_b64 v0, v[2:3], s[6:7] scope:SCOPE_SYS
.LBB0_2236:                             ;   Parent Loop BB0_2003 Depth=1
                                        ; =>  This Inner Loop Header: Depth=2
	global_load_b64 v[2:3], v0, s[4:5] scope:SCOPE_SYS
	s_wait_loadcnt 0x0
	v_cmp_ne_u64_e32 vcc_lo, s[10:11], v[2:3]
	s_cbranch_vccnz .LBB0_2236
; %bb.2237:                             ;   in Loop: Header=BB0_2003 Depth=1
	s_add_co_i32 s10, s8, 0x75
	s_mov_b32 s11, s9
	s_delay_alu instid0(SALU_CYCLE_1)
	v_mov_b64_e32 v[2:3], s[10:11]
	s_wait_xcnt 0x0
	global_store_b64 v0, v[2:3], s[6:7] scope:SCOPE_SYS
.LBB0_2238:                             ;   Parent Loop BB0_2003 Depth=1
                                        ; =>  This Inner Loop Header: Depth=2
	global_load_b64 v[2:3], v0, s[4:5] scope:SCOPE_SYS
	s_wait_loadcnt 0x0
	v_cmp_ne_u64_e32 vcc_lo, s[10:11], v[2:3]
	s_cbranch_vccnz .LBB0_2238
; %bb.2239:                             ;   in Loop: Header=BB0_2003 Depth=1
	s_add_co_i32 s10, s8, 0x76
	s_mov_b32 s11, s9
	s_delay_alu instid0(SALU_CYCLE_1)
	v_mov_b64_e32 v[2:3], s[10:11]
	s_wait_xcnt 0x0
	global_store_b64 v0, v[2:3], s[6:7] scope:SCOPE_SYS
.LBB0_2240:                             ;   Parent Loop BB0_2003 Depth=1
                                        ; =>  This Inner Loop Header: Depth=2
	global_load_b64 v[2:3], v0, s[4:5] scope:SCOPE_SYS
	s_wait_loadcnt 0x0
	v_cmp_ne_u64_e32 vcc_lo, s[10:11], v[2:3]
	s_cbranch_vccnz .LBB0_2240
; %bb.2241:                             ;   in Loop: Header=BB0_2003 Depth=1
	s_add_co_i32 s10, s8, 0x77
	s_mov_b32 s11, s9
	s_delay_alu instid0(SALU_CYCLE_1)
	v_mov_b64_e32 v[2:3], s[10:11]
	s_wait_xcnt 0x0
	global_store_b64 v0, v[2:3], s[6:7] scope:SCOPE_SYS
.LBB0_2242:                             ;   Parent Loop BB0_2003 Depth=1
                                        ; =>  This Inner Loop Header: Depth=2
	global_load_b64 v[2:3], v0, s[4:5] scope:SCOPE_SYS
	s_wait_loadcnt 0x0
	v_cmp_ne_u64_e32 vcc_lo, s[10:11], v[2:3]
	s_cbranch_vccnz .LBB0_2242
; %bb.2243:                             ;   in Loop: Header=BB0_2003 Depth=1
	s_add_co_i32 s10, s8, 0x78
	s_mov_b32 s11, s9
	s_delay_alu instid0(SALU_CYCLE_1)
	v_mov_b64_e32 v[2:3], s[10:11]
	s_wait_xcnt 0x0
	global_store_b64 v0, v[2:3], s[6:7] scope:SCOPE_SYS
.LBB0_2244:                             ;   Parent Loop BB0_2003 Depth=1
                                        ; =>  This Inner Loop Header: Depth=2
	global_load_b64 v[2:3], v0, s[4:5] scope:SCOPE_SYS
	s_wait_loadcnt 0x0
	v_cmp_ne_u64_e32 vcc_lo, s[10:11], v[2:3]
	s_cbranch_vccnz .LBB0_2244
; %bb.2245:                             ;   in Loop: Header=BB0_2003 Depth=1
	s_add_co_i32 s10, s8, 0x79
	s_mov_b32 s11, s9
	s_delay_alu instid0(SALU_CYCLE_1)
	v_mov_b64_e32 v[2:3], s[10:11]
	s_wait_xcnt 0x0
	global_store_b64 v0, v[2:3], s[6:7] scope:SCOPE_SYS
.LBB0_2246:                             ;   Parent Loop BB0_2003 Depth=1
                                        ; =>  This Inner Loop Header: Depth=2
	global_load_b64 v[2:3], v0, s[4:5] scope:SCOPE_SYS
	s_wait_loadcnt 0x0
	v_cmp_ne_u64_e32 vcc_lo, s[10:11], v[2:3]
	s_cbranch_vccnz .LBB0_2246
; %bb.2247:                             ;   in Loop: Header=BB0_2003 Depth=1
	s_add_co_i32 s10, s8, 0x7a
	s_mov_b32 s11, s9
	s_delay_alu instid0(SALU_CYCLE_1)
	v_mov_b64_e32 v[2:3], s[10:11]
	s_wait_xcnt 0x0
	global_store_b64 v0, v[2:3], s[6:7] scope:SCOPE_SYS
.LBB0_2248:                             ;   Parent Loop BB0_2003 Depth=1
                                        ; =>  This Inner Loop Header: Depth=2
	global_load_b64 v[2:3], v0, s[4:5] scope:SCOPE_SYS
	s_wait_loadcnt 0x0
	v_cmp_ne_u64_e32 vcc_lo, s[10:11], v[2:3]
	s_cbranch_vccnz .LBB0_2248
; %bb.2249:                             ;   in Loop: Header=BB0_2003 Depth=1
	s_add_co_i32 s10, s8, 0x7b
	s_mov_b32 s11, s9
	s_delay_alu instid0(SALU_CYCLE_1)
	v_mov_b64_e32 v[2:3], s[10:11]
	s_wait_xcnt 0x0
	global_store_b64 v0, v[2:3], s[6:7] scope:SCOPE_SYS
.LBB0_2250:                             ;   Parent Loop BB0_2003 Depth=1
                                        ; =>  This Inner Loop Header: Depth=2
	global_load_b64 v[2:3], v0, s[4:5] scope:SCOPE_SYS
	s_wait_loadcnt 0x0
	v_cmp_ne_u64_e32 vcc_lo, s[10:11], v[2:3]
	s_cbranch_vccnz .LBB0_2250
; %bb.2251:                             ;   in Loop: Header=BB0_2003 Depth=1
	s_add_co_i32 s10, s8, 0x7c
	s_mov_b32 s11, s9
	s_delay_alu instid0(SALU_CYCLE_1)
	v_mov_b64_e32 v[2:3], s[10:11]
	s_wait_xcnt 0x0
	global_store_b64 v0, v[2:3], s[6:7] scope:SCOPE_SYS
.LBB0_2252:                             ;   Parent Loop BB0_2003 Depth=1
                                        ; =>  This Inner Loop Header: Depth=2
	global_load_b64 v[2:3], v0, s[4:5] scope:SCOPE_SYS
	s_wait_loadcnt 0x0
	v_cmp_ne_u64_e32 vcc_lo, s[10:11], v[2:3]
	s_cbranch_vccnz .LBB0_2252
; %bb.2253:                             ;   in Loop: Header=BB0_2003 Depth=1
	s_add_co_i32 s10, s8, 0x7d
	s_mov_b32 s11, s9
	s_delay_alu instid0(SALU_CYCLE_1)
	v_mov_b64_e32 v[2:3], s[10:11]
	s_wait_xcnt 0x0
	global_store_b64 v0, v[2:3], s[6:7] scope:SCOPE_SYS
.LBB0_2254:                             ;   Parent Loop BB0_2003 Depth=1
                                        ; =>  This Inner Loop Header: Depth=2
	global_load_b64 v[2:3], v0, s[4:5] scope:SCOPE_SYS
	s_wait_loadcnt 0x0
	v_cmp_ne_u64_e32 vcc_lo, s[10:11], v[2:3]
	s_cbranch_vccnz .LBB0_2254
; %bb.2255:                             ;   in Loop: Header=BB0_2003 Depth=1
	s_add_co_i32 s10, s8, 0x7e
	s_mov_b32 s11, s9
	s_delay_alu instid0(SALU_CYCLE_1)
	v_mov_b64_e32 v[2:3], s[10:11]
	s_wait_xcnt 0x0
	global_store_b64 v0, v[2:3], s[6:7] scope:SCOPE_SYS
.LBB0_2256:                             ;   Parent Loop BB0_2003 Depth=1
                                        ; =>  This Inner Loop Header: Depth=2
	global_load_b64 v[2:3], v0, s[4:5] scope:SCOPE_SYS
	s_wait_loadcnt 0x0
	v_cmp_ne_u64_e32 vcc_lo, s[10:11], v[2:3]
	s_cbranch_vccnz .LBB0_2256
; %bb.2257:                             ;   in Loop: Header=BB0_2003 Depth=1
	s_add_co_i32 s10, s8, 0x7f
	s_mov_b32 s11, s9
	s_delay_alu instid0(SALU_CYCLE_1)
	v_mov_b64_e32 v[2:3], s[10:11]
	s_wait_xcnt 0x0
	global_store_b64 v0, v[2:3], s[6:7] scope:SCOPE_SYS
.LBB0_2258:                             ;   Parent Loop BB0_2003 Depth=1
                                        ; =>  This Inner Loop Header: Depth=2
	global_load_b64 v[2:3], v0, s[4:5] scope:SCOPE_SYS
	s_wait_loadcnt 0x0
	v_cmp_ne_u64_e32 vcc_lo, s[10:11], v[2:3]
	s_cbranch_vccnz .LBB0_2258
; %bb.2259:                             ;   in Loop: Header=BB0_2003 Depth=1
	s_add_co_i32 s10, s8, 0x80
	s_mov_b32 s11, s9
	s_delay_alu instid0(SALU_CYCLE_1)
	v_mov_b64_e32 v[2:3], s[10:11]
	s_wait_xcnt 0x0
	global_store_b64 v0, v[2:3], s[6:7] scope:SCOPE_SYS
.LBB0_2260:                             ;   Parent Loop BB0_2003 Depth=1
                                        ; =>  This Inner Loop Header: Depth=2
	global_load_b64 v[2:3], v0, s[4:5] scope:SCOPE_SYS
	s_wait_loadcnt 0x0
	v_cmp_ne_u64_e32 vcc_lo, s[10:11], v[2:3]
	s_cbranch_vccnz .LBB0_2260
; %bb.2261:                             ;   in Loop: Header=BB0_2003 Depth=1
	s_add_co_i32 s10, s8, 0x81
	s_mov_b32 s11, s9
	s_delay_alu instid0(SALU_CYCLE_1)
	v_mov_b64_e32 v[2:3], s[10:11]
	s_wait_xcnt 0x0
	global_store_b64 v0, v[2:3], s[6:7] scope:SCOPE_SYS
.LBB0_2262:                             ;   Parent Loop BB0_2003 Depth=1
                                        ; =>  This Inner Loop Header: Depth=2
	global_load_b64 v[2:3], v0, s[4:5] scope:SCOPE_SYS
	s_wait_loadcnt 0x0
	v_cmp_ne_u64_e32 vcc_lo, s[10:11], v[2:3]
	s_cbranch_vccnz .LBB0_2262
; %bb.2263:                             ;   in Loop: Header=BB0_2003 Depth=1
	s_add_co_i32 s10, s8, 0x82
	s_mov_b32 s11, s9
	s_delay_alu instid0(SALU_CYCLE_1)
	v_mov_b64_e32 v[2:3], s[10:11]
	s_wait_xcnt 0x0
	global_store_b64 v0, v[2:3], s[6:7] scope:SCOPE_SYS
.LBB0_2264:                             ;   Parent Loop BB0_2003 Depth=1
                                        ; =>  This Inner Loop Header: Depth=2
	global_load_b64 v[2:3], v0, s[4:5] scope:SCOPE_SYS
	s_wait_loadcnt 0x0
	v_cmp_ne_u64_e32 vcc_lo, s[10:11], v[2:3]
	s_cbranch_vccnz .LBB0_2264
; %bb.2265:                             ;   in Loop: Header=BB0_2003 Depth=1
	s_add_co_i32 s10, s8, 0x83
	s_mov_b32 s11, s9
	s_delay_alu instid0(SALU_CYCLE_1)
	v_mov_b64_e32 v[2:3], s[10:11]
	s_wait_xcnt 0x0
	global_store_b64 v0, v[2:3], s[6:7] scope:SCOPE_SYS
.LBB0_2266:                             ;   Parent Loop BB0_2003 Depth=1
                                        ; =>  This Inner Loop Header: Depth=2
	global_load_b64 v[2:3], v0, s[4:5] scope:SCOPE_SYS
	s_wait_loadcnt 0x0
	v_cmp_ne_u64_e32 vcc_lo, s[10:11], v[2:3]
	s_cbranch_vccnz .LBB0_2266
; %bb.2267:                             ;   in Loop: Header=BB0_2003 Depth=1
	s_add_co_i32 s10, s8, 0x84
	s_mov_b32 s11, s9
	s_delay_alu instid0(SALU_CYCLE_1)
	v_mov_b64_e32 v[2:3], s[10:11]
	s_wait_xcnt 0x0
	global_store_b64 v0, v[2:3], s[6:7] scope:SCOPE_SYS
.LBB0_2268:                             ;   Parent Loop BB0_2003 Depth=1
                                        ; =>  This Inner Loop Header: Depth=2
	global_load_b64 v[2:3], v0, s[4:5] scope:SCOPE_SYS
	s_wait_loadcnt 0x0
	v_cmp_ne_u64_e32 vcc_lo, s[10:11], v[2:3]
	s_cbranch_vccnz .LBB0_2268
; %bb.2269:                             ;   in Loop: Header=BB0_2003 Depth=1
	s_add_co_i32 s10, s8, 0x85
	s_mov_b32 s11, s9
	s_delay_alu instid0(SALU_CYCLE_1)
	v_mov_b64_e32 v[2:3], s[10:11]
	s_wait_xcnt 0x0
	global_store_b64 v0, v[2:3], s[6:7] scope:SCOPE_SYS
.LBB0_2270:                             ;   Parent Loop BB0_2003 Depth=1
                                        ; =>  This Inner Loop Header: Depth=2
	global_load_b64 v[2:3], v0, s[4:5] scope:SCOPE_SYS
	s_wait_loadcnt 0x0
	v_cmp_ne_u64_e32 vcc_lo, s[10:11], v[2:3]
	s_cbranch_vccnz .LBB0_2270
; %bb.2271:                             ;   in Loop: Header=BB0_2003 Depth=1
	s_add_co_i32 s10, s8, 0x86
	s_mov_b32 s11, s9
	s_delay_alu instid0(SALU_CYCLE_1)
	v_mov_b64_e32 v[2:3], s[10:11]
	s_wait_xcnt 0x0
	global_store_b64 v0, v[2:3], s[6:7] scope:SCOPE_SYS
.LBB0_2272:                             ;   Parent Loop BB0_2003 Depth=1
                                        ; =>  This Inner Loop Header: Depth=2
	global_load_b64 v[2:3], v0, s[4:5] scope:SCOPE_SYS
	s_wait_loadcnt 0x0
	v_cmp_ne_u64_e32 vcc_lo, s[10:11], v[2:3]
	s_cbranch_vccnz .LBB0_2272
; %bb.2273:                             ;   in Loop: Header=BB0_2003 Depth=1
	s_add_co_i32 s10, s8, 0x87
	s_mov_b32 s11, s9
	s_delay_alu instid0(SALU_CYCLE_1)
	v_mov_b64_e32 v[2:3], s[10:11]
	s_wait_xcnt 0x0
	global_store_b64 v0, v[2:3], s[6:7] scope:SCOPE_SYS
.LBB0_2274:                             ;   Parent Loop BB0_2003 Depth=1
                                        ; =>  This Inner Loop Header: Depth=2
	global_load_b64 v[2:3], v0, s[4:5] scope:SCOPE_SYS
	s_wait_loadcnt 0x0
	v_cmp_ne_u64_e32 vcc_lo, s[10:11], v[2:3]
	s_cbranch_vccnz .LBB0_2274
; %bb.2275:                             ;   in Loop: Header=BB0_2003 Depth=1
	s_add_co_i32 s10, s8, 0x88
	s_mov_b32 s11, s9
	s_delay_alu instid0(SALU_CYCLE_1)
	v_mov_b64_e32 v[2:3], s[10:11]
	s_wait_xcnt 0x0
	global_store_b64 v0, v[2:3], s[6:7] scope:SCOPE_SYS
.LBB0_2276:                             ;   Parent Loop BB0_2003 Depth=1
                                        ; =>  This Inner Loop Header: Depth=2
	global_load_b64 v[2:3], v0, s[4:5] scope:SCOPE_SYS
	s_wait_loadcnt 0x0
	v_cmp_ne_u64_e32 vcc_lo, s[10:11], v[2:3]
	s_cbranch_vccnz .LBB0_2276
; %bb.2277:                             ;   in Loop: Header=BB0_2003 Depth=1
	s_add_co_i32 s10, s8, 0x89
	s_mov_b32 s11, s9
	s_delay_alu instid0(SALU_CYCLE_1)
	v_mov_b64_e32 v[2:3], s[10:11]
	s_wait_xcnt 0x0
	global_store_b64 v0, v[2:3], s[6:7] scope:SCOPE_SYS
.LBB0_2278:                             ;   Parent Loop BB0_2003 Depth=1
                                        ; =>  This Inner Loop Header: Depth=2
	global_load_b64 v[2:3], v0, s[4:5] scope:SCOPE_SYS
	s_wait_loadcnt 0x0
	v_cmp_ne_u64_e32 vcc_lo, s[10:11], v[2:3]
	s_cbranch_vccnz .LBB0_2278
; %bb.2279:                             ;   in Loop: Header=BB0_2003 Depth=1
	s_add_co_i32 s10, s8, 0x8a
	s_mov_b32 s11, s9
	s_delay_alu instid0(SALU_CYCLE_1)
	v_mov_b64_e32 v[2:3], s[10:11]
	s_wait_xcnt 0x0
	global_store_b64 v0, v[2:3], s[6:7] scope:SCOPE_SYS
.LBB0_2280:                             ;   Parent Loop BB0_2003 Depth=1
                                        ; =>  This Inner Loop Header: Depth=2
	global_load_b64 v[2:3], v0, s[4:5] scope:SCOPE_SYS
	s_wait_loadcnt 0x0
	v_cmp_ne_u64_e32 vcc_lo, s[10:11], v[2:3]
	s_cbranch_vccnz .LBB0_2280
; %bb.2281:                             ;   in Loop: Header=BB0_2003 Depth=1
	s_add_co_i32 s10, s8, 0x8b
	s_mov_b32 s11, s9
	s_delay_alu instid0(SALU_CYCLE_1)
	v_mov_b64_e32 v[2:3], s[10:11]
	s_wait_xcnt 0x0
	global_store_b64 v0, v[2:3], s[6:7] scope:SCOPE_SYS
.LBB0_2282:                             ;   Parent Loop BB0_2003 Depth=1
                                        ; =>  This Inner Loop Header: Depth=2
	global_load_b64 v[2:3], v0, s[4:5] scope:SCOPE_SYS
	s_wait_loadcnt 0x0
	v_cmp_ne_u64_e32 vcc_lo, s[10:11], v[2:3]
	s_cbranch_vccnz .LBB0_2282
; %bb.2283:                             ;   in Loop: Header=BB0_2003 Depth=1
	s_add_co_i32 s10, s8, 0x8c
	s_mov_b32 s11, s9
	s_delay_alu instid0(SALU_CYCLE_1)
	v_mov_b64_e32 v[2:3], s[10:11]
	s_wait_xcnt 0x0
	global_store_b64 v0, v[2:3], s[6:7] scope:SCOPE_SYS
.LBB0_2284:                             ;   Parent Loop BB0_2003 Depth=1
                                        ; =>  This Inner Loop Header: Depth=2
	global_load_b64 v[2:3], v0, s[4:5] scope:SCOPE_SYS
	s_wait_loadcnt 0x0
	v_cmp_ne_u64_e32 vcc_lo, s[10:11], v[2:3]
	s_cbranch_vccnz .LBB0_2284
; %bb.2285:                             ;   in Loop: Header=BB0_2003 Depth=1
	s_add_co_i32 s10, s8, 0x8d
	s_mov_b32 s11, s9
	s_delay_alu instid0(SALU_CYCLE_1)
	v_mov_b64_e32 v[2:3], s[10:11]
	s_wait_xcnt 0x0
	global_store_b64 v0, v[2:3], s[6:7] scope:SCOPE_SYS
.LBB0_2286:                             ;   Parent Loop BB0_2003 Depth=1
                                        ; =>  This Inner Loop Header: Depth=2
	global_load_b64 v[2:3], v0, s[4:5] scope:SCOPE_SYS
	s_wait_loadcnt 0x0
	v_cmp_ne_u64_e32 vcc_lo, s[10:11], v[2:3]
	s_cbranch_vccnz .LBB0_2286
; %bb.2287:                             ;   in Loop: Header=BB0_2003 Depth=1
	s_add_co_i32 s10, s8, 0x8e
	s_mov_b32 s11, s9
	s_delay_alu instid0(SALU_CYCLE_1)
	v_mov_b64_e32 v[2:3], s[10:11]
	s_wait_xcnt 0x0
	global_store_b64 v0, v[2:3], s[6:7] scope:SCOPE_SYS
.LBB0_2288:                             ;   Parent Loop BB0_2003 Depth=1
                                        ; =>  This Inner Loop Header: Depth=2
	global_load_b64 v[2:3], v0, s[4:5] scope:SCOPE_SYS
	s_wait_loadcnt 0x0
	v_cmp_ne_u64_e32 vcc_lo, s[10:11], v[2:3]
	s_cbranch_vccnz .LBB0_2288
; %bb.2289:                             ;   in Loop: Header=BB0_2003 Depth=1
	s_add_co_i32 s10, s8, 0x8f
	s_mov_b32 s11, s9
	s_delay_alu instid0(SALU_CYCLE_1)
	v_mov_b64_e32 v[2:3], s[10:11]
	s_wait_xcnt 0x0
	global_store_b64 v0, v[2:3], s[6:7] scope:SCOPE_SYS
.LBB0_2290:                             ;   Parent Loop BB0_2003 Depth=1
                                        ; =>  This Inner Loop Header: Depth=2
	global_load_b64 v[2:3], v0, s[4:5] scope:SCOPE_SYS
	s_wait_loadcnt 0x0
	v_cmp_ne_u64_e32 vcc_lo, s[10:11], v[2:3]
	s_cbranch_vccnz .LBB0_2290
; %bb.2291:                             ;   in Loop: Header=BB0_2003 Depth=1
	s_add_co_i32 s10, s8, 0x90
	s_mov_b32 s11, s9
	s_delay_alu instid0(SALU_CYCLE_1)
	v_mov_b64_e32 v[2:3], s[10:11]
	s_wait_xcnt 0x0
	global_store_b64 v0, v[2:3], s[6:7] scope:SCOPE_SYS
.LBB0_2292:                             ;   Parent Loop BB0_2003 Depth=1
                                        ; =>  This Inner Loop Header: Depth=2
	global_load_b64 v[2:3], v0, s[4:5] scope:SCOPE_SYS
	s_wait_loadcnt 0x0
	v_cmp_ne_u64_e32 vcc_lo, s[10:11], v[2:3]
	s_cbranch_vccnz .LBB0_2292
; %bb.2293:                             ;   in Loop: Header=BB0_2003 Depth=1
	s_add_co_i32 s10, s8, 0x91
	s_mov_b32 s11, s9
	s_delay_alu instid0(SALU_CYCLE_1)
	v_mov_b64_e32 v[2:3], s[10:11]
	s_wait_xcnt 0x0
	global_store_b64 v0, v[2:3], s[6:7] scope:SCOPE_SYS
.LBB0_2294:                             ;   Parent Loop BB0_2003 Depth=1
                                        ; =>  This Inner Loop Header: Depth=2
	global_load_b64 v[2:3], v0, s[4:5] scope:SCOPE_SYS
	s_wait_loadcnt 0x0
	v_cmp_ne_u64_e32 vcc_lo, s[10:11], v[2:3]
	s_cbranch_vccnz .LBB0_2294
; %bb.2295:                             ;   in Loop: Header=BB0_2003 Depth=1
	s_add_co_i32 s10, s8, 0x92
	s_mov_b32 s11, s9
	s_delay_alu instid0(SALU_CYCLE_1)
	v_mov_b64_e32 v[2:3], s[10:11]
	s_wait_xcnt 0x0
	global_store_b64 v0, v[2:3], s[6:7] scope:SCOPE_SYS
.LBB0_2296:                             ;   Parent Loop BB0_2003 Depth=1
                                        ; =>  This Inner Loop Header: Depth=2
	global_load_b64 v[2:3], v0, s[4:5] scope:SCOPE_SYS
	s_wait_loadcnt 0x0
	v_cmp_ne_u64_e32 vcc_lo, s[10:11], v[2:3]
	s_cbranch_vccnz .LBB0_2296
; %bb.2297:                             ;   in Loop: Header=BB0_2003 Depth=1
	s_add_co_i32 s10, s8, 0x93
	s_mov_b32 s11, s9
	s_delay_alu instid0(SALU_CYCLE_1)
	v_mov_b64_e32 v[2:3], s[10:11]
	s_wait_xcnt 0x0
	global_store_b64 v0, v[2:3], s[6:7] scope:SCOPE_SYS
.LBB0_2298:                             ;   Parent Loop BB0_2003 Depth=1
                                        ; =>  This Inner Loop Header: Depth=2
	global_load_b64 v[2:3], v0, s[4:5] scope:SCOPE_SYS
	s_wait_loadcnt 0x0
	v_cmp_ne_u64_e32 vcc_lo, s[10:11], v[2:3]
	s_cbranch_vccnz .LBB0_2298
; %bb.2299:                             ;   in Loop: Header=BB0_2003 Depth=1
	s_add_co_i32 s10, s8, 0x94
	s_mov_b32 s11, s9
	s_delay_alu instid0(SALU_CYCLE_1)
	v_mov_b64_e32 v[2:3], s[10:11]
	s_wait_xcnt 0x0
	global_store_b64 v0, v[2:3], s[6:7] scope:SCOPE_SYS
.LBB0_2300:                             ;   Parent Loop BB0_2003 Depth=1
                                        ; =>  This Inner Loop Header: Depth=2
	global_load_b64 v[2:3], v0, s[4:5] scope:SCOPE_SYS
	s_wait_loadcnt 0x0
	v_cmp_ne_u64_e32 vcc_lo, s[10:11], v[2:3]
	s_cbranch_vccnz .LBB0_2300
; %bb.2301:                             ;   in Loop: Header=BB0_2003 Depth=1
	s_add_co_i32 s10, s8, 0x95
	s_mov_b32 s11, s9
	s_delay_alu instid0(SALU_CYCLE_1)
	v_mov_b64_e32 v[2:3], s[10:11]
	s_wait_xcnt 0x0
	global_store_b64 v0, v[2:3], s[6:7] scope:SCOPE_SYS
.LBB0_2302:                             ;   Parent Loop BB0_2003 Depth=1
                                        ; =>  This Inner Loop Header: Depth=2
	global_load_b64 v[2:3], v0, s[4:5] scope:SCOPE_SYS
	s_wait_loadcnt 0x0
	v_cmp_ne_u64_e32 vcc_lo, s[10:11], v[2:3]
	s_cbranch_vccnz .LBB0_2302
; %bb.2303:                             ;   in Loop: Header=BB0_2003 Depth=1
	s_add_co_i32 s10, s8, 0x96
	s_mov_b32 s11, s9
	s_delay_alu instid0(SALU_CYCLE_1)
	v_mov_b64_e32 v[2:3], s[10:11]
	s_wait_xcnt 0x0
	global_store_b64 v0, v[2:3], s[6:7] scope:SCOPE_SYS
.LBB0_2304:                             ;   Parent Loop BB0_2003 Depth=1
                                        ; =>  This Inner Loop Header: Depth=2
	global_load_b64 v[2:3], v0, s[4:5] scope:SCOPE_SYS
	s_wait_loadcnt 0x0
	v_cmp_ne_u64_e32 vcc_lo, s[10:11], v[2:3]
	s_cbranch_vccnz .LBB0_2304
; %bb.2305:                             ;   in Loop: Header=BB0_2003 Depth=1
	s_add_co_i32 s10, s8, 0x97
	s_mov_b32 s11, s9
	s_delay_alu instid0(SALU_CYCLE_1)
	v_mov_b64_e32 v[2:3], s[10:11]
	s_wait_xcnt 0x0
	global_store_b64 v0, v[2:3], s[6:7] scope:SCOPE_SYS
.LBB0_2306:                             ;   Parent Loop BB0_2003 Depth=1
                                        ; =>  This Inner Loop Header: Depth=2
	global_load_b64 v[2:3], v0, s[4:5] scope:SCOPE_SYS
	s_wait_loadcnt 0x0
	v_cmp_ne_u64_e32 vcc_lo, s[10:11], v[2:3]
	s_cbranch_vccnz .LBB0_2306
; %bb.2307:                             ;   in Loop: Header=BB0_2003 Depth=1
	s_add_co_i32 s10, s8, 0x98
	s_mov_b32 s11, s9
	s_delay_alu instid0(SALU_CYCLE_1)
	v_mov_b64_e32 v[2:3], s[10:11]
	s_wait_xcnt 0x0
	global_store_b64 v0, v[2:3], s[6:7] scope:SCOPE_SYS
.LBB0_2308:                             ;   Parent Loop BB0_2003 Depth=1
                                        ; =>  This Inner Loop Header: Depth=2
	global_load_b64 v[2:3], v0, s[4:5] scope:SCOPE_SYS
	s_wait_loadcnt 0x0
	v_cmp_ne_u64_e32 vcc_lo, s[10:11], v[2:3]
	s_cbranch_vccnz .LBB0_2308
; %bb.2309:                             ;   in Loop: Header=BB0_2003 Depth=1
	s_add_co_i32 s10, s8, 0x99
	s_mov_b32 s11, s9
	s_delay_alu instid0(SALU_CYCLE_1)
	v_mov_b64_e32 v[2:3], s[10:11]
	s_wait_xcnt 0x0
	global_store_b64 v0, v[2:3], s[6:7] scope:SCOPE_SYS
.LBB0_2310:                             ;   Parent Loop BB0_2003 Depth=1
                                        ; =>  This Inner Loop Header: Depth=2
	global_load_b64 v[2:3], v0, s[4:5] scope:SCOPE_SYS
	s_wait_loadcnt 0x0
	v_cmp_ne_u64_e32 vcc_lo, s[10:11], v[2:3]
	s_cbranch_vccnz .LBB0_2310
; %bb.2311:                             ;   in Loop: Header=BB0_2003 Depth=1
	s_add_co_i32 s10, s8, 0x9a
	s_mov_b32 s11, s9
	s_delay_alu instid0(SALU_CYCLE_1)
	v_mov_b64_e32 v[2:3], s[10:11]
	s_wait_xcnt 0x0
	global_store_b64 v0, v[2:3], s[6:7] scope:SCOPE_SYS
.LBB0_2312:                             ;   Parent Loop BB0_2003 Depth=1
                                        ; =>  This Inner Loop Header: Depth=2
	global_load_b64 v[2:3], v0, s[4:5] scope:SCOPE_SYS
	s_wait_loadcnt 0x0
	v_cmp_ne_u64_e32 vcc_lo, s[10:11], v[2:3]
	s_cbranch_vccnz .LBB0_2312
; %bb.2313:                             ;   in Loop: Header=BB0_2003 Depth=1
	s_add_co_i32 s10, s8, 0x9b
	s_mov_b32 s11, s9
	s_delay_alu instid0(SALU_CYCLE_1)
	v_mov_b64_e32 v[2:3], s[10:11]
	s_wait_xcnt 0x0
	global_store_b64 v0, v[2:3], s[6:7] scope:SCOPE_SYS
.LBB0_2314:                             ;   Parent Loop BB0_2003 Depth=1
                                        ; =>  This Inner Loop Header: Depth=2
	global_load_b64 v[2:3], v0, s[4:5] scope:SCOPE_SYS
	s_wait_loadcnt 0x0
	v_cmp_ne_u64_e32 vcc_lo, s[10:11], v[2:3]
	s_cbranch_vccnz .LBB0_2314
; %bb.2315:                             ;   in Loop: Header=BB0_2003 Depth=1
	s_add_co_i32 s10, s8, 0x9c
	s_mov_b32 s11, s9
	s_delay_alu instid0(SALU_CYCLE_1)
	v_mov_b64_e32 v[2:3], s[10:11]
	s_wait_xcnt 0x0
	global_store_b64 v0, v[2:3], s[6:7] scope:SCOPE_SYS
.LBB0_2316:                             ;   Parent Loop BB0_2003 Depth=1
                                        ; =>  This Inner Loop Header: Depth=2
	global_load_b64 v[2:3], v0, s[4:5] scope:SCOPE_SYS
	s_wait_loadcnt 0x0
	v_cmp_ne_u64_e32 vcc_lo, s[10:11], v[2:3]
	s_cbranch_vccnz .LBB0_2316
; %bb.2317:                             ;   in Loop: Header=BB0_2003 Depth=1
	s_add_co_i32 s10, s8, 0x9d
	s_mov_b32 s11, s9
	s_delay_alu instid0(SALU_CYCLE_1)
	v_mov_b64_e32 v[2:3], s[10:11]
	s_wait_xcnt 0x0
	global_store_b64 v0, v[2:3], s[6:7] scope:SCOPE_SYS
.LBB0_2318:                             ;   Parent Loop BB0_2003 Depth=1
                                        ; =>  This Inner Loop Header: Depth=2
	global_load_b64 v[2:3], v0, s[4:5] scope:SCOPE_SYS
	s_wait_loadcnt 0x0
	v_cmp_ne_u64_e32 vcc_lo, s[10:11], v[2:3]
	s_cbranch_vccnz .LBB0_2318
; %bb.2319:                             ;   in Loop: Header=BB0_2003 Depth=1
	s_add_co_i32 s10, s8, 0x9e
	s_mov_b32 s11, s9
	s_delay_alu instid0(SALU_CYCLE_1)
	v_mov_b64_e32 v[2:3], s[10:11]
	s_wait_xcnt 0x0
	global_store_b64 v0, v[2:3], s[6:7] scope:SCOPE_SYS
.LBB0_2320:                             ;   Parent Loop BB0_2003 Depth=1
                                        ; =>  This Inner Loop Header: Depth=2
	global_load_b64 v[2:3], v0, s[4:5] scope:SCOPE_SYS
	s_wait_loadcnt 0x0
	v_cmp_ne_u64_e32 vcc_lo, s[10:11], v[2:3]
	s_cbranch_vccnz .LBB0_2320
; %bb.2321:                             ;   in Loop: Header=BB0_2003 Depth=1
	s_add_co_i32 s10, s8, 0x9f
	s_mov_b32 s11, s9
	s_delay_alu instid0(SALU_CYCLE_1)
	v_mov_b64_e32 v[2:3], s[10:11]
	s_wait_xcnt 0x0
	global_store_b64 v0, v[2:3], s[6:7] scope:SCOPE_SYS
.LBB0_2322:                             ;   Parent Loop BB0_2003 Depth=1
                                        ; =>  This Inner Loop Header: Depth=2
	global_load_b64 v[2:3], v0, s[4:5] scope:SCOPE_SYS
	s_wait_loadcnt 0x0
	v_cmp_ne_u64_e32 vcc_lo, s[10:11], v[2:3]
	s_cbranch_vccnz .LBB0_2322
; %bb.2323:                             ;   in Loop: Header=BB0_2003 Depth=1
	s_add_co_i32 s10, s8, 0xa0
	s_mov_b32 s11, s9
	s_delay_alu instid0(SALU_CYCLE_1)
	v_mov_b64_e32 v[2:3], s[10:11]
	s_wait_xcnt 0x0
	global_store_b64 v0, v[2:3], s[6:7] scope:SCOPE_SYS
.LBB0_2324:                             ;   Parent Loop BB0_2003 Depth=1
                                        ; =>  This Inner Loop Header: Depth=2
	global_load_b64 v[2:3], v0, s[4:5] scope:SCOPE_SYS
	s_wait_loadcnt 0x0
	v_cmp_ne_u64_e32 vcc_lo, s[10:11], v[2:3]
	s_cbranch_vccnz .LBB0_2324
; %bb.2325:                             ;   in Loop: Header=BB0_2003 Depth=1
	s_add_co_i32 s10, s8, 0xa1
	s_mov_b32 s11, s9
	s_delay_alu instid0(SALU_CYCLE_1)
	v_mov_b64_e32 v[2:3], s[10:11]
	s_wait_xcnt 0x0
	global_store_b64 v0, v[2:3], s[6:7] scope:SCOPE_SYS
.LBB0_2326:                             ;   Parent Loop BB0_2003 Depth=1
                                        ; =>  This Inner Loop Header: Depth=2
	global_load_b64 v[2:3], v0, s[4:5] scope:SCOPE_SYS
	s_wait_loadcnt 0x0
	v_cmp_ne_u64_e32 vcc_lo, s[10:11], v[2:3]
	s_cbranch_vccnz .LBB0_2326
; %bb.2327:                             ;   in Loop: Header=BB0_2003 Depth=1
	s_add_co_i32 s10, s8, 0xa2
	s_mov_b32 s11, s9
	s_delay_alu instid0(SALU_CYCLE_1)
	v_mov_b64_e32 v[2:3], s[10:11]
	s_wait_xcnt 0x0
	global_store_b64 v0, v[2:3], s[6:7] scope:SCOPE_SYS
.LBB0_2328:                             ;   Parent Loop BB0_2003 Depth=1
                                        ; =>  This Inner Loop Header: Depth=2
	global_load_b64 v[2:3], v0, s[4:5] scope:SCOPE_SYS
	s_wait_loadcnt 0x0
	v_cmp_ne_u64_e32 vcc_lo, s[10:11], v[2:3]
	s_cbranch_vccnz .LBB0_2328
; %bb.2329:                             ;   in Loop: Header=BB0_2003 Depth=1
	s_add_co_i32 s10, s8, 0xa3
	s_mov_b32 s11, s9
	s_delay_alu instid0(SALU_CYCLE_1)
	v_mov_b64_e32 v[2:3], s[10:11]
	s_wait_xcnt 0x0
	global_store_b64 v0, v[2:3], s[6:7] scope:SCOPE_SYS
.LBB0_2330:                             ;   Parent Loop BB0_2003 Depth=1
                                        ; =>  This Inner Loop Header: Depth=2
	global_load_b64 v[2:3], v0, s[4:5] scope:SCOPE_SYS
	s_wait_loadcnt 0x0
	v_cmp_ne_u64_e32 vcc_lo, s[10:11], v[2:3]
	s_cbranch_vccnz .LBB0_2330
; %bb.2331:                             ;   in Loop: Header=BB0_2003 Depth=1
	s_add_co_i32 s10, s8, 0xa4
	s_mov_b32 s11, s9
	s_delay_alu instid0(SALU_CYCLE_1)
	v_mov_b64_e32 v[2:3], s[10:11]
	s_wait_xcnt 0x0
	global_store_b64 v0, v[2:3], s[6:7] scope:SCOPE_SYS
.LBB0_2332:                             ;   Parent Loop BB0_2003 Depth=1
                                        ; =>  This Inner Loop Header: Depth=2
	global_load_b64 v[2:3], v0, s[4:5] scope:SCOPE_SYS
	s_wait_loadcnt 0x0
	v_cmp_ne_u64_e32 vcc_lo, s[10:11], v[2:3]
	s_cbranch_vccnz .LBB0_2332
; %bb.2333:                             ;   in Loop: Header=BB0_2003 Depth=1
	s_add_co_i32 s10, s8, 0xa5
	s_mov_b32 s11, s9
	s_delay_alu instid0(SALU_CYCLE_1)
	v_mov_b64_e32 v[2:3], s[10:11]
	s_wait_xcnt 0x0
	global_store_b64 v0, v[2:3], s[6:7] scope:SCOPE_SYS
.LBB0_2334:                             ;   Parent Loop BB0_2003 Depth=1
                                        ; =>  This Inner Loop Header: Depth=2
	global_load_b64 v[2:3], v0, s[4:5] scope:SCOPE_SYS
	s_wait_loadcnt 0x0
	v_cmp_ne_u64_e32 vcc_lo, s[10:11], v[2:3]
	s_cbranch_vccnz .LBB0_2334
; %bb.2335:                             ;   in Loop: Header=BB0_2003 Depth=1
	s_add_co_i32 s10, s8, 0xa6
	s_mov_b32 s11, s9
	s_delay_alu instid0(SALU_CYCLE_1)
	v_mov_b64_e32 v[2:3], s[10:11]
	s_wait_xcnt 0x0
	global_store_b64 v0, v[2:3], s[6:7] scope:SCOPE_SYS
.LBB0_2336:                             ;   Parent Loop BB0_2003 Depth=1
                                        ; =>  This Inner Loop Header: Depth=2
	global_load_b64 v[2:3], v0, s[4:5] scope:SCOPE_SYS
	s_wait_loadcnt 0x0
	v_cmp_ne_u64_e32 vcc_lo, s[10:11], v[2:3]
	s_cbranch_vccnz .LBB0_2336
; %bb.2337:                             ;   in Loop: Header=BB0_2003 Depth=1
	s_add_co_i32 s10, s8, 0xa7
	s_mov_b32 s11, s9
	s_delay_alu instid0(SALU_CYCLE_1)
	v_mov_b64_e32 v[2:3], s[10:11]
	s_wait_xcnt 0x0
	global_store_b64 v0, v[2:3], s[6:7] scope:SCOPE_SYS
.LBB0_2338:                             ;   Parent Loop BB0_2003 Depth=1
                                        ; =>  This Inner Loop Header: Depth=2
	global_load_b64 v[2:3], v0, s[4:5] scope:SCOPE_SYS
	s_wait_loadcnt 0x0
	v_cmp_ne_u64_e32 vcc_lo, s[10:11], v[2:3]
	s_cbranch_vccnz .LBB0_2338
; %bb.2339:                             ;   in Loop: Header=BB0_2003 Depth=1
	s_add_co_i32 s10, s8, 0xa8
	s_mov_b32 s11, s9
	s_delay_alu instid0(SALU_CYCLE_1)
	v_mov_b64_e32 v[2:3], s[10:11]
	s_wait_xcnt 0x0
	global_store_b64 v0, v[2:3], s[6:7] scope:SCOPE_SYS
.LBB0_2340:                             ;   Parent Loop BB0_2003 Depth=1
                                        ; =>  This Inner Loop Header: Depth=2
	global_load_b64 v[2:3], v0, s[4:5] scope:SCOPE_SYS
	s_wait_loadcnt 0x0
	v_cmp_ne_u64_e32 vcc_lo, s[10:11], v[2:3]
	s_cbranch_vccnz .LBB0_2340
; %bb.2341:                             ;   in Loop: Header=BB0_2003 Depth=1
	s_add_co_i32 s10, s8, 0xa9
	s_mov_b32 s11, s9
	s_delay_alu instid0(SALU_CYCLE_1)
	v_mov_b64_e32 v[2:3], s[10:11]
	s_wait_xcnt 0x0
	global_store_b64 v0, v[2:3], s[6:7] scope:SCOPE_SYS
.LBB0_2342:                             ;   Parent Loop BB0_2003 Depth=1
                                        ; =>  This Inner Loop Header: Depth=2
	global_load_b64 v[2:3], v0, s[4:5] scope:SCOPE_SYS
	s_wait_loadcnt 0x0
	v_cmp_ne_u64_e32 vcc_lo, s[10:11], v[2:3]
	s_cbranch_vccnz .LBB0_2342
; %bb.2343:                             ;   in Loop: Header=BB0_2003 Depth=1
	s_add_co_i32 s10, s8, 0xaa
	s_mov_b32 s11, s9
	s_delay_alu instid0(SALU_CYCLE_1)
	v_mov_b64_e32 v[2:3], s[10:11]
	s_wait_xcnt 0x0
	global_store_b64 v0, v[2:3], s[6:7] scope:SCOPE_SYS
.LBB0_2344:                             ;   Parent Loop BB0_2003 Depth=1
                                        ; =>  This Inner Loop Header: Depth=2
	global_load_b64 v[2:3], v0, s[4:5] scope:SCOPE_SYS
	s_wait_loadcnt 0x0
	v_cmp_ne_u64_e32 vcc_lo, s[10:11], v[2:3]
	s_cbranch_vccnz .LBB0_2344
; %bb.2345:                             ;   in Loop: Header=BB0_2003 Depth=1
	s_add_co_i32 s10, s8, 0xab
	s_mov_b32 s11, s9
	s_delay_alu instid0(SALU_CYCLE_1)
	v_mov_b64_e32 v[2:3], s[10:11]
	s_wait_xcnt 0x0
	global_store_b64 v0, v[2:3], s[6:7] scope:SCOPE_SYS
.LBB0_2346:                             ;   Parent Loop BB0_2003 Depth=1
                                        ; =>  This Inner Loop Header: Depth=2
	global_load_b64 v[2:3], v0, s[4:5] scope:SCOPE_SYS
	s_wait_loadcnt 0x0
	v_cmp_ne_u64_e32 vcc_lo, s[10:11], v[2:3]
	s_cbranch_vccnz .LBB0_2346
; %bb.2347:                             ;   in Loop: Header=BB0_2003 Depth=1
	s_add_co_i32 s10, s8, 0xac
	s_mov_b32 s11, s9
	s_delay_alu instid0(SALU_CYCLE_1)
	v_mov_b64_e32 v[2:3], s[10:11]
	s_wait_xcnt 0x0
	global_store_b64 v0, v[2:3], s[6:7] scope:SCOPE_SYS
.LBB0_2348:                             ;   Parent Loop BB0_2003 Depth=1
                                        ; =>  This Inner Loop Header: Depth=2
	global_load_b64 v[2:3], v0, s[4:5] scope:SCOPE_SYS
	s_wait_loadcnt 0x0
	v_cmp_ne_u64_e32 vcc_lo, s[10:11], v[2:3]
	s_cbranch_vccnz .LBB0_2348
; %bb.2349:                             ;   in Loop: Header=BB0_2003 Depth=1
	s_add_co_i32 s10, s8, 0xad
	s_mov_b32 s11, s9
	s_delay_alu instid0(SALU_CYCLE_1)
	v_mov_b64_e32 v[2:3], s[10:11]
	s_wait_xcnt 0x0
	global_store_b64 v0, v[2:3], s[6:7] scope:SCOPE_SYS
.LBB0_2350:                             ;   Parent Loop BB0_2003 Depth=1
                                        ; =>  This Inner Loop Header: Depth=2
	global_load_b64 v[2:3], v0, s[4:5] scope:SCOPE_SYS
	s_wait_loadcnt 0x0
	v_cmp_ne_u64_e32 vcc_lo, s[10:11], v[2:3]
	s_cbranch_vccnz .LBB0_2350
; %bb.2351:                             ;   in Loop: Header=BB0_2003 Depth=1
	s_add_co_i32 s10, s8, 0xae
	s_mov_b32 s11, s9
	s_delay_alu instid0(SALU_CYCLE_1)
	v_mov_b64_e32 v[2:3], s[10:11]
	s_wait_xcnt 0x0
	global_store_b64 v0, v[2:3], s[6:7] scope:SCOPE_SYS
.LBB0_2352:                             ;   Parent Loop BB0_2003 Depth=1
                                        ; =>  This Inner Loop Header: Depth=2
	global_load_b64 v[2:3], v0, s[4:5] scope:SCOPE_SYS
	s_wait_loadcnt 0x0
	v_cmp_ne_u64_e32 vcc_lo, s[10:11], v[2:3]
	s_cbranch_vccnz .LBB0_2352
; %bb.2353:                             ;   in Loop: Header=BB0_2003 Depth=1
	s_add_co_i32 s10, s8, 0xaf
	s_mov_b32 s11, s9
	s_delay_alu instid0(SALU_CYCLE_1)
	v_mov_b64_e32 v[2:3], s[10:11]
	s_wait_xcnt 0x0
	global_store_b64 v0, v[2:3], s[6:7] scope:SCOPE_SYS
.LBB0_2354:                             ;   Parent Loop BB0_2003 Depth=1
                                        ; =>  This Inner Loop Header: Depth=2
	global_load_b64 v[2:3], v0, s[4:5] scope:SCOPE_SYS
	s_wait_loadcnt 0x0
	v_cmp_ne_u64_e32 vcc_lo, s[10:11], v[2:3]
	s_cbranch_vccnz .LBB0_2354
; %bb.2355:                             ;   in Loop: Header=BB0_2003 Depth=1
	s_add_co_i32 s10, s8, 0xb0
	s_mov_b32 s11, s9
	s_delay_alu instid0(SALU_CYCLE_1)
	v_mov_b64_e32 v[2:3], s[10:11]
	s_wait_xcnt 0x0
	global_store_b64 v0, v[2:3], s[6:7] scope:SCOPE_SYS
.LBB0_2356:                             ;   Parent Loop BB0_2003 Depth=1
                                        ; =>  This Inner Loop Header: Depth=2
	global_load_b64 v[2:3], v0, s[4:5] scope:SCOPE_SYS
	s_wait_loadcnt 0x0
	v_cmp_ne_u64_e32 vcc_lo, s[10:11], v[2:3]
	s_cbranch_vccnz .LBB0_2356
; %bb.2357:                             ;   in Loop: Header=BB0_2003 Depth=1
	s_add_co_i32 s10, s8, 0xb1
	s_mov_b32 s11, s9
	s_delay_alu instid0(SALU_CYCLE_1)
	v_mov_b64_e32 v[2:3], s[10:11]
	s_wait_xcnt 0x0
	global_store_b64 v0, v[2:3], s[6:7] scope:SCOPE_SYS
.LBB0_2358:                             ;   Parent Loop BB0_2003 Depth=1
                                        ; =>  This Inner Loop Header: Depth=2
	global_load_b64 v[2:3], v0, s[4:5] scope:SCOPE_SYS
	s_wait_loadcnt 0x0
	v_cmp_ne_u64_e32 vcc_lo, s[10:11], v[2:3]
	s_cbranch_vccnz .LBB0_2358
; %bb.2359:                             ;   in Loop: Header=BB0_2003 Depth=1
	s_add_co_i32 s10, s8, 0xb2
	s_mov_b32 s11, s9
	s_delay_alu instid0(SALU_CYCLE_1)
	v_mov_b64_e32 v[2:3], s[10:11]
	s_wait_xcnt 0x0
	global_store_b64 v0, v[2:3], s[6:7] scope:SCOPE_SYS
.LBB0_2360:                             ;   Parent Loop BB0_2003 Depth=1
                                        ; =>  This Inner Loop Header: Depth=2
	global_load_b64 v[2:3], v0, s[4:5] scope:SCOPE_SYS
	s_wait_loadcnt 0x0
	v_cmp_ne_u64_e32 vcc_lo, s[10:11], v[2:3]
	s_cbranch_vccnz .LBB0_2360
; %bb.2361:                             ;   in Loop: Header=BB0_2003 Depth=1
	s_add_co_i32 s10, s8, 0xb3
	s_mov_b32 s11, s9
	s_delay_alu instid0(SALU_CYCLE_1)
	v_mov_b64_e32 v[2:3], s[10:11]
	s_wait_xcnt 0x0
	global_store_b64 v0, v[2:3], s[6:7] scope:SCOPE_SYS
.LBB0_2362:                             ;   Parent Loop BB0_2003 Depth=1
                                        ; =>  This Inner Loop Header: Depth=2
	global_load_b64 v[2:3], v0, s[4:5] scope:SCOPE_SYS
	s_wait_loadcnt 0x0
	v_cmp_ne_u64_e32 vcc_lo, s[10:11], v[2:3]
	s_cbranch_vccnz .LBB0_2362
; %bb.2363:                             ;   in Loop: Header=BB0_2003 Depth=1
	s_add_co_i32 s10, s8, 0xb4
	s_mov_b32 s11, s9
	s_delay_alu instid0(SALU_CYCLE_1)
	v_mov_b64_e32 v[2:3], s[10:11]
	s_wait_xcnt 0x0
	global_store_b64 v0, v[2:3], s[6:7] scope:SCOPE_SYS
.LBB0_2364:                             ;   Parent Loop BB0_2003 Depth=1
                                        ; =>  This Inner Loop Header: Depth=2
	global_load_b64 v[2:3], v0, s[4:5] scope:SCOPE_SYS
	s_wait_loadcnt 0x0
	v_cmp_ne_u64_e32 vcc_lo, s[10:11], v[2:3]
	s_cbranch_vccnz .LBB0_2364
; %bb.2365:                             ;   in Loop: Header=BB0_2003 Depth=1
	s_add_co_i32 s10, s8, 0xb5
	s_mov_b32 s11, s9
	s_delay_alu instid0(SALU_CYCLE_1)
	v_mov_b64_e32 v[2:3], s[10:11]
	s_wait_xcnt 0x0
	global_store_b64 v0, v[2:3], s[6:7] scope:SCOPE_SYS
.LBB0_2366:                             ;   Parent Loop BB0_2003 Depth=1
                                        ; =>  This Inner Loop Header: Depth=2
	global_load_b64 v[2:3], v0, s[4:5] scope:SCOPE_SYS
	s_wait_loadcnt 0x0
	v_cmp_ne_u64_e32 vcc_lo, s[10:11], v[2:3]
	s_cbranch_vccnz .LBB0_2366
; %bb.2367:                             ;   in Loop: Header=BB0_2003 Depth=1
	s_add_co_i32 s10, s8, 0xb6
	s_mov_b32 s11, s9
	s_delay_alu instid0(SALU_CYCLE_1)
	v_mov_b64_e32 v[2:3], s[10:11]
	s_wait_xcnt 0x0
	global_store_b64 v0, v[2:3], s[6:7] scope:SCOPE_SYS
.LBB0_2368:                             ;   Parent Loop BB0_2003 Depth=1
                                        ; =>  This Inner Loop Header: Depth=2
	global_load_b64 v[2:3], v0, s[4:5] scope:SCOPE_SYS
	s_wait_loadcnt 0x0
	v_cmp_ne_u64_e32 vcc_lo, s[10:11], v[2:3]
	s_cbranch_vccnz .LBB0_2368
; %bb.2369:                             ;   in Loop: Header=BB0_2003 Depth=1
	s_add_co_i32 s10, s8, 0xb7
	s_mov_b32 s11, s9
	s_delay_alu instid0(SALU_CYCLE_1)
	v_mov_b64_e32 v[2:3], s[10:11]
	s_wait_xcnt 0x0
	global_store_b64 v0, v[2:3], s[6:7] scope:SCOPE_SYS
.LBB0_2370:                             ;   Parent Loop BB0_2003 Depth=1
                                        ; =>  This Inner Loop Header: Depth=2
	global_load_b64 v[2:3], v0, s[4:5] scope:SCOPE_SYS
	s_wait_loadcnt 0x0
	v_cmp_ne_u64_e32 vcc_lo, s[10:11], v[2:3]
	s_cbranch_vccnz .LBB0_2370
; %bb.2371:                             ;   in Loop: Header=BB0_2003 Depth=1
	s_add_co_i32 s10, s8, 0xb8
	s_mov_b32 s11, s9
	s_delay_alu instid0(SALU_CYCLE_1)
	v_mov_b64_e32 v[2:3], s[10:11]
	s_wait_xcnt 0x0
	global_store_b64 v0, v[2:3], s[6:7] scope:SCOPE_SYS
.LBB0_2372:                             ;   Parent Loop BB0_2003 Depth=1
                                        ; =>  This Inner Loop Header: Depth=2
	global_load_b64 v[2:3], v0, s[4:5] scope:SCOPE_SYS
	s_wait_loadcnt 0x0
	v_cmp_ne_u64_e32 vcc_lo, s[10:11], v[2:3]
	s_cbranch_vccnz .LBB0_2372
; %bb.2373:                             ;   in Loop: Header=BB0_2003 Depth=1
	s_add_co_i32 s10, s8, 0xb9
	s_mov_b32 s11, s9
	s_delay_alu instid0(SALU_CYCLE_1)
	v_mov_b64_e32 v[2:3], s[10:11]
	s_wait_xcnt 0x0
	global_store_b64 v0, v[2:3], s[6:7] scope:SCOPE_SYS
.LBB0_2374:                             ;   Parent Loop BB0_2003 Depth=1
                                        ; =>  This Inner Loop Header: Depth=2
	global_load_b64 v[2:3], v0, s[4:5] scope:SCOPE_SYS
	s_wait_loadcnt 0x0
	v_cmp_ne_u64_e32 vcc_lo, s[10:11], v[2:3]
	s_cbranch_vccnz .LBB0_2374
; %bb.2375:                             ;   in Loop: Header=BB0_2003 Depth=1
	s_add_co_i32 s10, s8, 0xba
	s_mov_b32 s11, s9
	s_delay_alu instid0(SALU_CYCLE_1)
	v_mov_b64_e32 v[2:3], s[10:11]
	s_wait_xcnt 0x0
	global_store_b64 v0, v[2:3], s[6:7] scope:SCOPE_SYS
.LBB0_2376:                             ;   Parent Loop BB0_2003 Depth=1
                                        ; =>  This Inner Loop Header: Depth=2
	global_load_b64 v[2:3], v0, s[4:5] scope:SCOPE_SYS
	s_wait_loadcnt 0x0
	v_cmp_ne_u64_e32 vcc_lo, s[10:11], v[2:3]
	s_cbranch_vccnz .LBB0_2376
; %bb.2377:                             ;   in Loop: Header=BB0_2003 Depth=1
	s_add_co_i32 s10, s8, 0xbb
	s_mov_b32 s11, s9
	s_delay_alu instid0(SALU_CYCLE_1)
	v_mov_b64_e32 v[2:3], s[10:11]
	s_wait_xcnt 0x0
	global_store_b64 v0, v[2:3], s[6:7] scope:SCOPE_SYS
.LBB0_2378:                             ;   Parent Loop BB0_2003 Depth=1
                                        ; =>  This Inner Loop Header: Depth=2
	global_load_b64 v[2:3], v0, s[4:5] scope:SCOPE_SYS
	s_wait_loadcnt 0x0
	v_cmp_ne_u64_e32 vcc_lo, s[10:11], v[2:3]
	s_cbranch_vccnz .LBB0_2378
; %bb.2379:                             ;   in Loop: Header=BB0_2003 Depth=1
	s_add_co_i32 s10, s8, 0xbc
	s_mov_b32 s11, s9
	s_delay_alu instid0(SALU_CYCLE_1)
	v_mov_b64_e32 v[2:3], s[10:11]
	s_wait_xcnt 0x0
	global_store_b64 v0, v[2:3], s[6:7] scope:SCOPE_SYS
.LBB0_2380:                             ;   Parent Loop BB0_2003 Depth=1
                                        ; =>  This Inner Loop Header: Depth=2
	global_load_b64 v[2:3], v0, s[4:5] scope:SCOPE_SYS
	s_wait_loadcnt 0x0
	v_cmp_ne_u64_e32 vcc_lo, s[10:11], v[2:3]
	s_cbranch_vccnz .LBB0_2380
; %bb.2381:                             ;   in Loop: Header=BB0_2003 Depth=1
	s_add_co_i32 s10, s8, 0xbd
	s_mov_b32 s11, s9
	s_delay_alu instid0(SALU_CYCLE_1)
	v_mov_b64_e32 v[2:3], s[10:11]
	s_wait_xcnt 0x0
	global_store_b64 v0, v[2:3], s[6:7] scope:SCOPE_SYS
.LBB0_2382:                             ;   Parent Loop BB0_2003 Depth=1
                                        ; =>  This Inner Loop Header: Depth=2
	global_load_b64 v[2:3], v0, s[4:5] scope:SCOPE_SYS
	s_wait_loadcnt 0x0
	v_cmp_ne_u64_e32 vcc_lo, s[10:11], v[2:3]
	s_cbranch_vccnz .LBB0_2382
; %bb.2383:                             ;   in Loop: Header=BB0_2003 Depth=1
	s_add_co_i32 s10, s8, 0xbe
	s_mov_b32 s11, s9
	s_delay_alu instid0(SALU_CYCLE_1)
	v_mov_b64_e32 v[2:3], s[10:11]
	s_wait_xcnt 0x0
	global_store_b64 v0, v[2:3], s[6:7] scope:SCOPE_SYS
.LBB0_2384:                             ;   Parent Loop BB0_2003 Depth=1
                                        ; =>  This Inner Loop Header: Depth=2
	global_load_b64 v[2:3], v0, s[4:5] scope:SCOPE_SYS
	s_wait_loadcnt 0x0
	v_cmp_ne_u64_e32 vcc_lo, s[10:11], v[2:3]
	s_cbranch_vccnz .LBB0_2384
; %bb.2385:                             ;   in Loop: Header=BB0_2003 Depth=1
	s_add_co_i32 s10, s8, 0xbf
	s_mov_b32 s11, s9
	s_delay_alu instid0(SALU_CYCLE_1)
	v_mov_b64_e32 v[2:3], s[10:11]
	s_wait_xcnt 0x0
	global_store_b64 v0, v[2:3], s[6:7] scope:SCOPE_SYS
.LBB0_2386:                             ;   Parent Loop BB0_2003 Depth=1
                                        ; =>  This Inner Loop Header: Depth=2
	global_load_b64 v[2:3], v0, s[4:5] scope:SCOPE_SYS
	s_wait_loadcnt 0x0
	v_cmp_ne_u64_e32 vcc_lo, s[10:11], v[2:3]
	s_cbranch_vccnz .LBB0_2386
; %bb.2387:                             ;   in Loop: Header=BB0_2003 Depth=1
	s_add_co_i32 s10, s8, 0xc0
	s_mov_b32 s11, s9
	s_delay_alu instid0(SALU_CYCLE_1)
	v_mov_b64_e32 v[2:3], s[10:11]
	s_wait_xcnt 0x0
	global_store_b64 v0, v[2:3], s[6:7] scope:SCOPE_SYS
.LBB0_2388:                             ;   Parent Loop BB0_2003 Depth=1
                                        ; =>  This Inner Loop Header: Depth=2
	global_load_b64 v[2:3], v0, s[4:5] scope:SCOPE_SYS
	s_wait_loadcnt 0x0
	v_cmp_ne_u64_e32 vcc_lo, s[10:11], v[2:3]
	s_cbranch_vccnz .LBB0_2388
; %bb.2389:                             ;   in Loop: Header=BB0_2003 Depth=1
	s_add_co_i32 s10, s8, 0xc1
	s_mov_b32 s11, s9
	s_delay_alu instid0(SALU_CYCLE_1)
	v_mov_b64_e32 v[2:3], s[10:11]
	s_wait_xcnt 0x0
	global_store_b64 v0, v[2:3], s[6:7] scope:SCOPE_SYS
.LBB0_2390:                             ;   Parent Loop BB0_2003 Depth=1
                                        ; =>  This Inner Loop Header: Depth=2
	global_load_b64 v[2:3], v0, s[4:5] scope:SCOPE_SYS
	s_wait_loadcnt 0x0
	v_cmp_ne_u64_e32 vcc_lo, s[10:11], v[2:3]
	s_cbranch_vccnz .LBB0_2390
; %bb.2391:                             ;   in Loop: Header=BB0_2003 Depth=1
	s_add_co_i32 s10, s8, 0xc2
	s_mov_b32 s11, s9
	s_delay_alu instid0(SALU_CYCLE_1)
	v_mov_b64_e32 v[2:3], s[10:11]
	s_wait_xcnt 0x0
	global_store_b64 v0, v[2:3], s[6:7] scope:SCOPE_SYS
.LBB0_2392:                             ;   Parent Loop BB0_2003 Depth=1
                                        ; =>  This Inner Loop Header: Depth=2
	global_load_b64 v[2:3], v0, s[4:5] scope:SCOPE_SYS
	s_wait_loadcnt 0x0
	v_cmp_ne_u64_e32 vcc_lo, s[10:11], v[2:3]
	s_cbranch_vccnz .LBB0_2392
; %bb.2393:                             ;   in Loop: Header=BB0_2003 Depth=1
	s_add_co_i32 s10, s8, 0xc3
	s_mov_b32 s11, s9
	s_delay_alu instid0(SALU_CYCLE_1)
	v_mov_b64_e32 v[2:3], s[10:11]
	s_wait_xcnt 0x0
	global_store_b64 v0, v[2:3], s[6:7] scope:SCOPE_SYS
.LBB0_2394:                             ;   Parent Loop BB0_2003 Depth=1
                                        ; =>  This Inner Loop Header: Depth=2
	global_load_b64 v[2:3], v0, s[4:5] scope:SCOPE_SYS
	s_wait_loadcnt 0x0
	v_cmp_ne_u64_e32 vcc_lo, s[10:11], v[2:3]
	s_cbranch_vccnz .LBB0_2394
; %bb.2395:                             ;   in Loop: Header=BB0_2003 Depth=1
	s_add_co_i32 s10, s8, 0xc4
	s_mov_b32 s11, s9
	s_delay_alu instid0(SALU_CYCLE_1)
	v_mov_b64_e32 v[2:3], s[10:11]
	s_wait_xcnt 0x0
	global_store_b64 v0, v[2:3], s[6:7] scope:SCOPE_SYS
.LBB0_2396:                             ;   Parent Loop BB0_2003 Depth=1
                                        ; =>  This Inner Loop Header: Depth=2
	global_load_b64 v[2:3], v0, s[4:5] scope:SCOPE_SYS
	s_wait_loadcnt 0x0
	v_cmp_ne_u64_e32 vcc_lo, s[10:11], v[2:3]
	s_cbranch_vccnz .LBB0_2396
; %bb.2397:                             ;   in Loop: Header=BB0_2003 Depth=1
	s_add_co_i32 s10, s8, 0xc5
	s_mov_b32 s11, s9
	s_delay_alu instid0(SALU_CYCLE_1)
	v_mov_b64_e32 v[2:3], s[10:11]
	s_wait_xcnt 0x0
	global_store_b64 v0, v[2:3], s[6:7] scope:SCOPE_SYS
.LBB0_2398:                             ;   Parent Loop BB0_2003 Depth=1
                                        ; =>  This Inner Loop Header: Depth=2
	global_load_b64 v[2:3], v0, s[4:5] scope:SCOPE_SYS
	s_wait_loadcnt 0x0
	v_cmp_ne_u64_e32 vcc_lo, s[10:11], v[2:3]
	s_cbranch_vccnz .LBB0_2398
; %bb.2399:                             ;   in Loop: Header=BB0_2003 Depth=1
	s_add_co_i32 s10, s8, 0xc6
	s_mov_b32 s11, s9
	s_delay_alu instid0(SALU_CYCLE_1)
	v_mov_b64_e32 v[2:3], s[10:11]
	s_wait_xcnt 0x0
	global_store_b64 v0, v[2:3], s[6:7] scope:SCOPE_SYS
.LBB0_2400:                             ;   Parent Loop BB0_2003 Depth=1
                                        ; =>  This Inner Loop Header: Depth=2
	global_load_b64 v[2:3], v0, s[4:5] scope:SCOPE_SYS
	s_wait_loadcnt 0x0
	v_cmp_ne_u64_e32 vcc_lo, s[10:11], v[2:3]
	s_cbranch_vccnz .LBB0_2400
; %bb.2401:                             ;   in Loop: Header=BB0_2003 Depth=1
	s_add_co_i32 s10, s8, 0xc7
	s_mov_b32 s11, s9
	s_delay_alu instid0(SALU_CYCLE_1)
	v_mov_b64_e32 v[2:3], s[10:11]
	s_wait_xcnt 0x0
	global_store_b64 v0, v[2:3], s[6:7] scope:SCOPE_SYS
.LBB0_2402:                             ;   Parent Loop BB0_2003 Depth=1
                                        ; =>  This Inner Loop Header: Depth=2
	global_load_b64 v[2:3], v0, s[4:5] scope:SCOPE_SYS
	s_wait_loadcnt 0x0
	v_cmp_ne_u64_e32 vcc_lo, s[10:11], v[2:3]
	s_cbranch_vccnz .LBB0_2402
; %bb.2403:                             ;   in Loop: Header=BB0_2003 Depth=1
	s_add_co_i32 s10, s8, 0xc8
	s_mov_b32 s11, s9
	s_delay_alu instid0(SALU_CYCLE_1)
	v_mov_b64_e32 v[2:3], s[10:11]
	s_wait_xcnt 0x0
	global_store_b64 v0, v[2:3], s[6:7] scope:SCOPE_SYS
.LBB0_2404:                             ;   Parent Loop BB0_2003 Depth=1
                                        ; =>  This Inner Loop Header: Depth=2
	global_load_b64 v[2:3], v0, s[4:5] scope:SCOPE_SYS
	s_wait_loadcnt 0x0
	v_cmp_ne_u64_e32 vcc_lo, s[10:11], v[2:3]
	s_cbranch_vccnz .LBB0_2404
; %bb.2405:                             ;   in Loop: Header=BB0_2003 Depth=1
	s_add_co_i32 s10, s8, 0xc9
	s_mov_b32 s11, s9
	s_delay_alu instid0(SALU_CYCLE_1)
	v_mov_b64_e32 v[2:3], s[10:11]
	s_wait_xcnt 0x0
	global_store_b64 v0, v[2:3], s[6:7] scope:SCOPE_SYS
.LBB0_2406:                             ;   Parent Loop BB0_2003 Depth=1
                                        ; =>  This Inner Loop Header: Depth=2
	global_load_b64 v[2:3], v0, s[4:5] scope:SCOPE_SYS
	s_wait_loadcnt 0x0
	v_cmp_ne_u64_e32 vcc_lo, s[10:11], v[2:3]
	s_cbranch_vccnz .LBB0_2406
; %bb.2407:                             ;   in Loop: Header=BB0_2003 Depth=1
	s_add_co_i32 s10, s8, 0xca
	s_mov_b32 s11, s9
	s_delay_alu instid0(SALU_CYCLE_1)
	v_mov_b64_e32 v[2:3], s[10:11]
	s_wait_xcnt 0x0
	global_store_b64 v0, v[2:3], s[6:7] scope:SCOPE_SYS
.LBB0_2408:                             ;   Parent Loop BB0_2003 Depth=1
                                        ; =>  This Inner Loop Header: Depth=2
	global_load_b64 v[2:3], v0, s[4:5] scope:SCOPE_SYS
	s_wait_loadcnt 0x0
	v_cmp_ne_u64_e32 vcc_lo, s[10:11], v[2:3]
	s_cbranch_vccnz .LBB0_2408
; %bb.2409:                             ;   in Loop: Header=BB0_2003 Depth=1
	s_add_co_i32 s10, s8, 0xcb
	s_mov_b32 s11, s9
	s_delay_alu instid0(SALU_CYCLE_1)
	v_mov_b64_e32 v[2:3], s[10:11]
	s_wait_xcnt 0x0
	global_store_b64 v0, v[2:3], s[6:7] scope:SCOPE_SYS
.LBB0_2410:                             ;   Parent Loop BB0_2003 Depth=1
                                        ; =>  This Inner Loop Header: Depth=2
	global_load_b64 v[2:3], v0, s[4:5] scope:SCOPE_SYS
	s_wait_loadcnt 0x0
	v_cmp_ne_u64_e32 vcc_lo, s[10:11], v[2:3]
	s_cbranch_vccnz .LBB0_2410
; %bb.2411:                             ;   in Loop: Header=BB0_2003 Depth=1
	s_add_co_i32 s10, s8, 0xcc
	s_mov_b32 s11, s9
	s_delay_alu instid0(SALU_CYCLE_1)
	v_mov_b64_e32 v[2:3], s[10:11]
	s_wait_xcnt 0x0
	global_store_b64 v0, v[2:3], s[6:7] scope:SCOPE_SYS
.LBB0_2412:                             ;   Parent Loop BB0_2003 Depth=1
                                        ; =>  This Inner Loop Header: Depth=2
	global_load_b64 v[2:3], v0, s[4:5] scope:SCOPE_SYS
	s_wait_loadcnt 0x0
	v_cmp_ne_u64_e32 vcc_lo, s[10:11], v[2:3]
	s_cbranch_vccnz .LBB0_2412
; %bb.2413:                             ;   in Loop: Header=BB0_2003 Depth=1
	s_add_co_i32 s10, s8, 0xcd
	s_mov_b32 s11, s9
	s_delay_alu instid0(SALU_CYCLE_1)
	v_mov_b64_e32 v[2:3], s[10:11]
	s_wait_xcnt 0x0
	global_store_b64 v0, v[2:3], s[6:7] scope:SCOPE_SYS
.LBB0_2414:                             ;   Parent Loop BB0_2003 Depth=1
                                        ; =>  This Inner Loop Header: Depth=2
	global_load_b64 v[2:3], v0, s[4:5] scope:SCOPE_SYS
	s_wait_loadcnt 0x0
	v_cmp_ne_u64_e32 vcc_lo, s[10:11], v[2:3]
	s_cbranch_vccnz .LBB0_2414
; %bb.2415:                             ;   in Loop: Header=BB0_2003 Depth=1
	s_add_co_i32 s10, s8, 0xce
	s_mov_b32 s11, s9
	s_delay_alu instid0(SALU_CYCLE_1)
	v_mov_b64_e32 v[2:3], s[10:11]
	s_wait_xcnt 0x0
	global_store_b64 v0, v[2:3], s[6:7] scope:SCOPE_SYS
.LBB0_2416:                             ;   Parent Loop BB0_2003 Depth=1
                                        ; =>  This Inner Loop Header: Depth=2
	global_load_b64 v[2:3], v0, s[4:5] scope:SCOPE_SYS
	s_wait_loadcnt 0x0
	v_cmp_ne_u64_e32 vcc_lo, s[10:11], v[2:3]
	s_cbranch_vccnz .LBB0_2416
; %bb.2417:                             ;   in Loop: Header=BB0_2003 Depth=1
	s_add_co_i32 s10, s8, 0xcf
	s_mov_b32 s11, s9
	s_delay_alu instid0(SALU_CYCLE_1)
	v_mov_b64_e32 v[2:3], s[10:11]
	s_wait_xcnt 0x0
	global_store_b64 v0, v[2:3], s[6:7] scope:SCOPE_SYS
.LBB0_2418:                             ;   Parent Loop BB0_2003 Depth=1
                                        ; =>  This Inner Loop Header: Depth=2
	global_load_b64 v[2:3], v0, s[4:5] scope:SCOPE_SYS
	s_wait_loadcnt 0x0
	v_cmp_ne_u64_e32 vcc_lo, s[10:11], v[2:3]
	s_cbranch_vccnz .LBB0_2418
; %bb.2419:                             ;   in Loop: Header=BB0_2003 Depth=1
	s_add_co_i32 s10, s8, 0xd0
	s_mov_b32 s11, s9
	s_delay_alu instid0(SALU_CYCLE_1)
	v_mov_b64_e32 v[2:3], s[10:11]
	s_wait_xcnt 0x0
	global_store_b64 v0, v[2:3], s[6:7] scope:SCOPE_SYS
.LBB0_2420:                             ;   Parent Loop BB0_2003 Depth=1
                                        ; =>  This Inner Loop Header: Depth=2
	global_load_b64 v[2:3], v0, s[4:5] scope:SCOPE_SYS
	s_wait_loadcnt 0x0
	v_cmp_ne_u64_e32 vcc_lo, s[10:11], v[2:3]
	s_cbranch_vccnz .LBB0_2420
; %bb.2421:                             ;   in Loop: Header=BB0_2003 Depth=1
	s_add_co_i32 s10, s8, 0xd1
	s_mov_b32 s11, s9
	s_delay_alu instid0(SALU_CYCLE_1)
	v_mov_b64_e32 v[2:3], s[10:11]
	s_wait_xcnt 0x0
	global_store_b64 v0, v[2:3], s[6:7] scope:SCOPE_SYS
.LBB0_2422:                             ;   Parent Loop BB0_2003 Depth=1
                                        ; =>  This Inner Loop Header: Depth=2
	global_load_b64 v[2:3], v0, s[4:5] scope:SCOPE_SYS
	s_wait_loadcnt 0x0
	v_cmp_ne_u64_e32 vcc_lo, s[10:11], v[2:3]
	s_cbranch_vccnz .LBB0_2422
; %bb.2423:                             ;   in Loop: Header=BB0_2003 Depth=1
	s_add_co_i32 s10, s8, 0xd2
	s_mov_b32 s11, s9
	s_delay_alu instid0(SALU_CYCLE_1)
	v_mov_b64_e32 v[2:3], s[10:11]
	s_wait_xcnt 0x0
	global_store_b64 v0, v[2:3], s[6:7] scope:SCOPE_SYS
.LBB0_2424:                             ;   Parent Loop BB0_2003 Depth=1
                                        ; =>  This Inner Loop Header: Depth=2
	global_load_b64 v[2:3], v0, s[4:5] scope:SCOPE_SYS
	s_wait_loadcnt 0x0
	v_cmp_ne_u64_e32 vcc_lo, s[10:11], v[2:3]
	s_cbranch_vccnz .LBB0_2424
; %bb.2425:                             ;   in Loop: Header=BB0_2003 Depth=1
	s_add_co_i32 s10, s8, 0xd3
	s_mov_b32 s11, s9
	s_delay_alu instid0(SALU_CYCLE_1)
	v_mov_b64_e32 v[2:3], s[10:11]
	s_wait_xcnt 0x0
	global_store_b64 v0, v[2:3], s[6:7] scope:SCOPE_SYS
.LBB0_2426:                             ;   Parent Loop BB0_2003 Depth=1
                                        ; =>  This Inner Loop Header: Depth=2
	global_load_b64 v[2:3], v0, s[4:5] scope:SCOPE_SYS
	s_wait_loadcnt 0x0
	v_cmp_ne_u64_e32 vcc_lo, s[10:11], v[2:3]
	s_cbranch_vccnz .LBB0_2426
; %bb.2427:                             ;   in Loop: Header=BB0_2003 Depth=1
	s_add_co_i32 s10, s8, 0xd4
	s_mov_b32 s11, s9
	s_delay_alu instid0(SALU_CYCLE_1)
	v_mov_b64_e32 v[2:3], s[10:11]
	s_wait_xcnt 0x0
	global_store_b64 v0, v[2:3], s[6:7] scope:SCOPE_SYS
.LBB0_2428:                             ;   Parent Loop BB0_2003 Depth=1
                                        ; =>  This Inner Loop Header: Depth=2
	global_load_b64 v[2:3], v0, s[4:5] scope:SCOPE_SYS
	s_wait_loadcnt 0x0
	v_cmp_ne_u64_e32 vcc_lo, s[10:11], v[2:3]
	s_cbranch_vccnz .LBB0_2428
; %bb.2429:                             ;   in Loop: Header=BB0_2003 Depth=1
	s_add_co_i32 s10, s8, 0xd5
	s_mov_b32 s11, s9
	s_delay_alu instid0(SALU_CYCLE_1)
	v_mov_b64_e32 v[2:3], s[10:11]
	s_wait_xcnt 0x0
	global_store_b64 v0, v[2:3], s[6:7] scope:SCOPE_SYS
.LBB0_2430:                             ;   Parent Loop BB0_2003 Depth=1
                                        ; =>  This Inner Loop Header: Depth=2
	global_load_b64 v[2:3], v0, s[4:5] scope:SCOPE_SYS
	s_wait_loadcnt 0x0
	v_cmp_ne_u64_e32 vcc_lo, s[10:11], v[2:3]
	s_cbranch_vccnz .LBB0_2430
; %bb.2431:                             ;   in Loop: Header=BB0_2003 Depth=1
	s_add_co_i32 s10, s8, 0xd6
	s_mov_b32 s11, s9
	s_delay_alu instid0(SALU_CYCLE_1)
	v_mov_b64_e32 v[2:3], s[10:11]
	s_wait_xcnt 0x0
	global_store_b64 v0, v[2:3], s[6:7] scope:SCOPE_SYS
.LBB0_2432:                             ;   Parent Loop BB0_2003 Depth=1
                                        ; =>  This Inner Loop Header: Depth=2
	global_load_b64 v[2:3], v0, s[4:5] scope:SCOPE_SYS
	s_wait_loadcnt 0x0
	v_cmp_ne_u64_e32 vcc_lo, s[10:11], v[2:3]
	s_cbranch_vccnz .LBB0_2432
; %bb.2433:                             ;   in Loop: Header=BB0_2003 Depth=1
	s_add_co_i32 s10, s8, 0xd7
	s_mov_b32 s11, s9
	s_delay_alu instid0(SALU_CYCLE_1)
	v_mov_b64_e32 v[2:3], s[10:11]
	s_wait_xcnt 0x0
	global_store_b64 v0, v[2:3], s[6:7] scope:SCOPE_SYS
.LBB0_2434:                             ;   Parent Loop BB0_2003 Depth=1
                                        ; =>  This Inner Loop Header: Depth=2
	global_load_b64 v[2:3], v0, s[4:5] scope:SCOPE_SYS
	s_wait_loadcnt 0x0
	v_cmp_ne_u64_e32 vcc_lo, s[10:11], v[2:3]
	s_cbranch_vccnz .LBB0_2434
; %bb.2435:                             ;   in Loop: Header=BB0_2003 Depth=1
	s_add_co_i32 s10, s8, 0xd8
	s_mov_b32 s11, s9
	s_delay_alu instid0(SALU_CYCLE_1)
	v_mov_b64_e32 v[2:3], s[10:11]
	s_wait_xcnt 0x0
	global_store_b64 v0, v[2:3], s[6:7] scope:SCOPE_SYS
.LBB0_2436:                             ;   Parent Loop BB0_2003 Depth=1
                                        ; =>  This Inner Loop Header: Depth=2
	global_load_b64 v[2:3], v0, s[4:5] scope:SCOPE_SYS
	s_wait_loadcnt 0x0
	v_cmp_ne_u64_e32 vcc_lo, s[10:11], v[2:3]
	s_cbranch_vccnz .LBB0_2436
; %bb.2437:                             ;   in Loop: Header=BB0_2003 Depth=1
	s_add_co_i32 s10, s8, 0xd9
	s_mov_b32 s11, s9
	s_delay_alu instid0(SALU_CYCLE_1)
	v_mov_b64_e32 v[2:3], s[10:11]
	s_wait_xcnt 0x0
	global_store_b64 v0, v[2:3], s[6:7] scope:SCOPE_SYS
.LBB0_2438:                             ;   Parent Loop BB0_2003 Depth=1
                                        ; =>  This Inner Loop Header: Depth=2
	global_load_b64 v[2:3], v0, s[4:5] scope:SCOPE_SYS
	s_wait_loadcnt 0x0
	v_cmp_ne_u64_e32 vcc_lo, s[10:11], v[2:3]
	s_cbranch_vccnz .LBB0_2438
; %bb.2439:                             ;   in Loop: Header=BB0_2003 Depth=1
	s_add_co_i32 s10, s8, 0xda
	s_mov_b32 s11, s9
	s_delay_alu instid0(SALU_CYCLE_1)
	v_mov_b64_e32 v[2:3], s[10:11]
	s_wait_xcnt 0x0
	global_store_b64 v0, v[2:3], s[6:7] scope:SCOPE_SYS
.LBB0_2440:                             ;   Parent Loop BB0_2003 Depth=1
                                        ; =>  This Inner Loop Header: Depth=2
	global_load_b64 v[2:3], v0, s[4:5] scope:SCOPE_SYS
	s_wait_loadcnt 0x0
	v_cmp_ne_u64_e32 vcc_lo, s[10:11], v[2:3]
	s_cbranch_vccnz .LBB0_2440
; %bb.2441:                             ;   in Loop: Header=BB0_2003 Depth=1
	s_add_co_i32 s10, s8, 0xdb
	s_mov_b32 s11, s9
	s_delay_alu instid0(SALU_CYCLE_1)
	v_mov_b64_e32 v[2:3], s[10:11]
	s_wait_xcnt 0x0
	global_store_b64 v0, v[2:3], s[6:7] scope:SCOPE_SYS
.LBB0_2442:                             ;   Parent Loop BB0_2003 Depth=1
                                        ; =>  This Inner Loop Header: Depth=2
	global_load_b64 v[2:3], v0, s[4:5] scope:SCOPE_SYS
	s_wait_loadcnt 0x0
	v_cmp_ne_u64_e32 vcc_lo, s[10:11], v[2:3]
	s_cbranch_vccnz .LBB0_2442
; %bb.2443:                             ;   in Loop: Header=BB0_2003 Depth=1
	s_add_co_i32 s10, s8, 0xdc
	s_mov_b32 s11, s9
	s_delay_alu instid0(SALU_CYCLE_1)
	v_mov_b64_e32 v[2:3], s[10:11]
	s_wait_xcnt 0x0
	global_store_b64 v0, v[2:3], s[6:7] scope:SCOPE_SYS
.LBB0_2444:                             ;   Parent Loop BB0_2003 Depth=1
                                        ; =>  This Inner Loop Header: Depth=2
	global_load_b64 v[2:3], v0, s[4:5] scope:SCOPE_SYS
	s_wait_loadcnt 0x0
	v_cmp_ne_u64_e32 vcc_lo, s[10:11], v[2:3]
	s_cbranch_vccnz .LBB0_2444
; %bb.2445:                             ;   in Loop: Header=BB0_2003 Depth=1
	s_add_co_i32 s10, s8, 0xdd
	s_mov_b32 s11, s9
	s_delay_alu instid0(SALU_CYCLE_1)
	v_mov_b64_e32 v[2:3], s[10:11]
	s_wait_xcnt 0x0
	global_store_b64 v0, v[2:3], s[6:7] scope:SCOPE_SYS
.LBB0_2446:                             ;   Parent Loop BB0_2003 Depth=1
                                        ; =>  This Inner Loop Header: Depth=2
	global_load_b64 v[2:3], v0, s[4:5] scope:SCOPE_SYS
	s_wait_loadcnt 0x0
	v_cmp_ne_u64_e32 vcc_lo, s[10:11], v[2:3]
	s_cbranch_vccnz .LBB0_2446
; %bb.2447:                             ;   in Loop: Header=BB0_2003 Depth=1
	s_add_co_i32 s10, s8, 0xde
	s_mov_b32 s11, s9
	s_delay_alu instid0(SALU_CYCLE_1)
	v_mov_b64_e32 v[2:3], s[10:11]
	s_wait_xcnt 0x0
	global_store_b64 v0, v[2:3], s[6:7] scope:SCOPE_SYS
.LBB0_2448:                             ;   Parent Loop BB0_2003 Depth=1
                                        ; =>  This Inner Loop Header: Depth=2
	global_load_b64 v[2:3], v0, s[4:5] scope:SCOPE_SYS
	s_wait_loadcnt 0x0
	v_cmp_ne_u64_e32 vcc_lo, s[10:11], v[2:3]
	s_cbranch_vccnz .LBB0_2448
; %bb.2449:                             ;   in Loop: Header=BB0_2003 Depth=1
	s_add_co_i32 s10, s8, 0xdf
	s_mov_b32 s11, s9
	s_delay_alu instid0(SALU_CYCLE_1)
	v_mov_b64_e32 v[2:3], s[10:11]
	s_wait_xcnt 0x0
	global_store_b64 v0, v[2:3], s[6:7] scope:SCOPE_SYS
.LBB0_2450:                             ;   Parent Loop BB0_2003 Depth=1
                                        ; =>  This Inner Loop Header: Depth=2
	global_load_b64 v[2:3], v0, s[4:5] scope:SCOPE_SYS
	s_wait_loadcnt 0x0
	v_cmp_ne_u64_e32 vcc_lo, s[10:11], v[2:3]
	s_cbranch_vccnz .LBB0_2450
; %bb.2451:                             ;   in Loop: Header=BB0_2003 Depth=1
	s_add_co_i32 s10, s8, 0xe0
	s_mov_b32 s11, s9
	s_delay_alu instid0(SALU_CYCLE_1)
	v_mov_b64_e32 v[2:3], s[10:11]
	s_wait_xcnt 0x0
	global_store_b64 v0, v[2:3], s[6:7] scope:SCOPE_SYS
.LBB0_2452:                             ;   Parent Loop BB0_2003 Depth=1
                                        ; =>  This Inner Loop Header: Depth=2
	global_load_b64 v[2:3], v0, s[4:5] scope:SCOPE_SYS
	s_wait_loadcnt 0x0
	v_cmp_ne_u64_e32 vcc_lo, s[10:11], v[2:3]
	s_cbranch_vccnz .LBB0_2452
; %bb.2453:                             ;   in Loop: Header=BB0_2003 Depth=1
	s_add_co_i32 s10, s8, 0xe1
	s_mov_b32 s11, s9
	s_delay_alu instid0(SALU_CYCLE_1)
	v_mov_b64_e32 v[2:3], s[10:11]
	s_wait_xcnt 0x0
	global_store_b64 v0, v[2:3], s[6:7] scope:SCOPE_SYS
.LBB0_2454:                             ;   Parent Loop BB0_2003 Depth=1
                                        ; =>  This Inner Loop Header: Depth=2
	global_load_b64 v[2:3], v0, s[4:5] scope:SCOPE_SYS
	s_wait_loadcnt 0x0
	v_cmp_ne_u64_e32 vcc_lo, s[10:11], v[2:3]
	s_cbranch_vccnz .LBB0_2454
; %bb.2455:                             ;   in Loop: Header=BB0_2003 Depth=1
	s_add_co_i32 s10, s8, 0xe2
	s_mov_b32 s11, s9
	s_delay_alu instid0(SALU_CYCLE_1)
	v_mov_b64_e32 v[2:3], s[10:11]
	s_wait_xcnt 0x0
	global_store_b64 v0, v[2:3], s[6:7] scope:SCOPE_SYS
.LBB0_2456:                             ;   Parent Loop BB0_2003 Depth=1
                                        ; =>  This Inner Loop Header: Depth=2
	global_load_b64 v[2:3], v0, s[4:5] scope:SCOPE_SYS
	s_wait_loadcnt 0x0
	v_cmp_ne_u64_e32 vcc_lo, s[10:11], v[2:3]
	s_cbranch_vccnz .LBB0_2456
; %bb.2457:                             ;   in Loop: Header=BB0_2003 Depth=1
	s_add_co_i32 s10, s8, 0xe3
	s_mov_b32 s11, s9
	s_delay_alu instid0(SALU_CYCLE_1)
	v_mov_b64_e32 v[2:3], s[10:11]
	s_wait_xcnt 0x0
	global_store_b64 v0, v[2:3], s[6:7] scope:SCOPE_SYS
.LBB0_2458:                             ;   Parent Loop BB0_2003 Depth=1
                                        ; =>  This Inner Loop Header: Depth=2
	global_load_b64 v[2:3], v0, s[4:5] scope:SCOPE_SYS
	s_wait_loadcnt 0x0
	v_cmp_ne_u64_e32 vcc_lo, s[10:11], v[2:3]
	s_cbranch_vccnz .LBB0_2458
; %bb.2459:                             ;   in Loop: Header=BB0_2003 Depth=1
	s_add_co_i32 s10, s8, 0xe4
	s_mov_b32 s11, s9
	s_delay_alu instid0(SALU_CYCLE_1)
	v_mov_b64_e32 v[2:3], s[10:11]
	s_wait_xcnt 0x0
	global_store_b64 v0, v[2:3], s[6:7] scope:SCOPE_SYS
.LBB0_2460:                             ;   Parent Loop BB0_2003 Depth=1
                                        ; =>  This Inner Loop Header: Depth=2
	global_load_b64 v[2:3], v0, s[4:5] scope:SCOPE_SYS
	s_wait_loadcnt 0x0
	v_cmp_ne_u64_e32 vcc_lo, s[10:11], v[2:3]
	s_cbranch_vccnz .LBB0_2460
; %bb.2461:                             ;   in Loop: Header=BB0_2003 Depth=1
	s_add_co_i32 s10, s8, 0xe5
	s_mov_b32 s11, s9
	s_delay_alu instid0(SALU_CYCLE_1)
	v_mov_b64_e32 v[2:3], s[10:11]
	s_wait_xcnt 0x0
	global_store_b64 v0, v[2:3], s[6:7] scope:SCOPE_SYS
.LBB0_2462:                             ;   Parent Loop BB0_2003 Depth=1
                                        ; =>  This Inner Loop Header: Depth=2
	global_load_b64 v[2:3], v0, s[4:5] scope:SCOPE_SYS
	s_wait_loadcnt 0x0
	v_cmp_ne_u64_e32 vcc_lo, s[10:11], v[2:3]
	s_cbranch_vccnz .LBB0_2462
; %bb.2463:                             ;   in Loop: Header=BB0_2003 Depth=1
	s_add_co_i32 s10, s8, 0xe6
	s_mov_b32 s11, s9
	s_delay_alu instid0(SALU_CYCLE_1)
	v_mov_b64_e32 v[2:3], s[10:11]
	s_wait_xcnt 0x0
	global_store_b64 v0, v[2:3], s[6:7] scope:SCOPE_SYS
.LBB0_2464:                             ;   Parent Loop BB0_2003 Depth=1
                                        ; =>  This Inner Loop Header: Depth=2
	global_load_b64 v[2:3], v0, s[4:5] scope:SCOPE_SYS
	s_wait_loadcnt 0x0
	v_cmp_ne_u64_e32 vcc_lo, s[10:11], v[2:3]
	s_cbranch_vccnz .LBB0_2464
; %bb.2465:                             ;   in Loop: Header=BB0_2003 Depth=1
	s_add_co_i32 s10, s8, 0xe7
	s_mov_b32 s11, s9
	s_delay_alu instid0(SALU_CYCLE_1)
	v_mov_b64_e32 v[2:3], s[10:11]
	s_wait_xcnt 0x0
	global_store_b64 v0, v[2:3], s[6:7] scope:SCOPE_SYS
.LBB0_2466:                             ;   Parent Loop BB0_2003 Depth=1
                                        ; =>  This Inner Loop Header: Depth=2
	global_load_b64 v[2:3], v0, s[4:5] scope:SCOPE_SYS
	s_wait_loadcnt 0x0
	v_cmp_ne_u64_e32 vcc_lo, s[10:11], v[2:3]
	s_cbranch_vccnz .LBB0_2466
; %bb.2467:                             ;   in Loop: Header=BB0_2003 Depth=1
	s_add_co_i32 s10, s8, 0xe8
	s_mov_b32 s11, s9
	s_delay_alu instid0(SALU_CYCLE_1)
	v_mov_b64_e32 v[2:3], s[10:11]
	s_wait_xcnt 0x0
	global_store_b64 v0, v[2:3], s[6:7] scope:SCOPE_SYS
.LBB0_2468:                             ;   Parent Loop BB0_2003 Depth=1
                                        ; =>  This Inner Loop Header: Depth=2
	global_load_b64 v[2:3], v0, s[4:5] scope:SCOPE_SYS
	s_wait_loadcnt 0x0
	v_cmp_ne_u64_e32 vcc_lo, s[10:11], v[2:3]
	s_cbranch_vccnz .LBB0_2468
; %bb.2469:                             ;   in Loop: Header=BB0_2003 Depth=1
	s_add_co_i32 s10, s8, 0xe9
	s_mov_b32 s11, s9
	s_delay_alu instid0(SALU_CYCLE_1)
	v_mov_b64_e32 v[2:3], s[10:11]
	s_wait_xcnt 0x0
	global_store_b64 v0, v[2:3], s[6:7] scope:SCOPE_SYS
.LBB0_2470:                             ;   Parent Loop BB0_2003 Depth=1
                                        ; =>  This Inner Loop Header: Depth=2
	global_load_b64 v[2:3], v0, s[4:5] scope:SCOPE_SYS
	s_wait_loadcnt 0x0
	v_cmp_ne_u64_e32 vcc_lo, s[10:11], v[2:3]
	s_cbranch_vccnz .LBB0_2470
; %bb.2471:                             ;   in Loop: Header=BB0_2003 Depth=1
	s_add_co_i32 s10, s8, 0xea
	s_mov_b32 s11, s9
	s_delay_alu instid0(SALU_CYCLE_1)
	v_mov_b64_e32 v[2:3], s[10:11]
	s_wait_xcnt 0x0
	global_store_b64 v0, v[2:3], s[6:7] scope:SCOPE_SYS
.LBB0_2472:                             ;   Parent Loop BB0_2003 Depth=1
                                        ; =>  This Inner Loop Header: Depth=2
	global_load_b64 v[2:3], v0, s[4:5] scope:SCOPE_SYS
	s_wait_loadcnt 0x0
	v_cmp_ne_u64_e32 vcc_lo, s[10:11], v[2:3]
	s_cbranch_vccnz .LBB0_2472
; %bb.2473:                             ;   in Loop: Header=BB0_2003 Depth=1
	s_add_co_i32 s10, s8, 0xeb
	s_mov_b32 s11, s9
	s_delay_alu instid0(SALU_CYCLE_1)
	v_mov_b64_e32 v[2:3], s[10:11]
	s_wait_xcnt 0x0
	global_store_b64 v0, v[2:3], s[6:7] scope:SCOPE_SYS
.LBB0_2474:                             ;   Parent Loop BB0_2003 Depth=1
                                        ; =>  This Inner Loop Header: Depth=2
	global_load_b64 v[2:3], v0, s[4:5] scope:SCOPE_SYS
	s_wait_loadcnt 0x0
	v_cmp_ne_u64_e32 vcc_lo, s[10:11], v[2:3]
	s_cbranch_vccnz .LBB0_2474
; %bb.2475:                             ;   in Loop: Header=BB0_2003 Depth=1
	s_add_co_i32 s10, s8, 0xec
	s_mov_b32 s11, s9
	s_delay_alu instid0(SALU_CYCLE_1)
	v_mov_b64_e32 v[2:3], s[10:11]
	s_wait_xcnt 0x0
	global_store_b64 v0, v[2:3], s[6:7] scope:SCOPE_SYS
.LBB0_2476:                             ;   Parent Loop BB0_2003 Depth=1
                                        ; =>  This Inner Loop Header: Depth=2
	global_load_b64 v[2:3], v0, s[4:5] scope:SCOPE_SYS
	s_wait_loadcnt 0x0
	v_cmp_ne_u64_e32 vcc_lo, s[10:11], v[2:3]
	s_cbranch_vccnz .LBB0_2476
; %bb.2477:                             ;   in Loop: Header=BB0_2003 Depth=1
	s_add_co_i32 s10, s8, 0xed
	s_mov_b32 s11, s9
	s_delay_alu instid0(SALU_CYCLE_1)
	v_mov_b64_e32 v[2:3], s[10:11]
	s_wait_xcnt 0x0
	global_store_b64 v0, v[2:3], s[6:7] scope:SCOPE_SYS
.LBB0_2478:                             ;   Parent Loop BB0_2003 Depth=1
                                        ; =>  This Inner Loop Header: Depth=2
	global_load_b64 v[2:3], v0, s[4:5] scope:SCOPE_SYS
	s_wait_loadcnt 0x0
	v_cmp_ne_u64_e32 vcc_lo, s[10:11], v[2:3]
	s_cbranch_vccnz .LBB0_2478
; %bb.2479:                             ;   in Loop: Header=BB0_2003 Depth=1
	s_add_co_i32 s10, s8, 0xee
	s_mov_b32 s11, s9
	s_delay_alu instid0(SALU_CYCLE_1)
	v_mov_b64_e32 v[2:3], s[10:11]
	s_wait_xcnt 0x0
	global_store_b64 v0, v[2:3], s[6:7] scope:SCOPE_SYS
.LBB0_2480:                             ;   Parent Loop BB0_2003 Depth=1
                                        ; =>  This Inner Loop Header: Depth=2
	global_load_b64 v[2:3], v0, s[4:5] scope:SCOPE_SYS
	s_wait_loadcnt 0x0
	v_cmp_ne_u64_e32 vcc_lo, s[10:11], v[2:3]
	s_cbranch_vccnz .LBB0_2480
; %bb.2481:                             ;   in Loop: Header=BB0_2003 Depth=1
	s_add_co_i32 s10, s8, 0xef
	s_mov_b32 s11, s9
	s_delay_alu instid0(SALU_CYCLE_1)
	v_mov_b64_e32 v[2:3], s[10:11]
	s_wait_xcnt 0x0
	global_store_b64 v0, v[2:3], s[6:7] scope:SCOPE_SYS
.LBB0_2482:                             ;   Parent Loop BB0_2003 Depth=1
                                        ; =>  This Inner Loop Header: Depth=2
	global_load_b64 v[2:3], v0, s[4:5] scope:SCOPE_SYS
	s_wait_loadcnt 0x0
	v_cmp_ne_u64_e32 vcc_lo, s[10:11], v[2:3]
	s_cbranch_vccnz .LBB0_2482
; %bb.2483:                             ;   in Loop: Header=BB0_2003 Depth=1
	s_add_co_i32 s10, s8, 0xf0
	s_mov_b32 s11, s9
	s_delay_alu instid0(SALU_CYCLE_1)
	v_mov_b64_e32 v[2:3], s[10:11]
	s_wait_xcnt 0x0
	global_store_b64 v0, v[2:3], s[6:7] scope:SCOPE_SYS
.LBB0_2484:                             ;   Parent Loop BB0_2003 Depth=1
                                        ; =>  This Inner Loop Header: Depth=2
	global_load_b64 v[2:3], v0, s[4:5] scope:SCOPE_SYS
	s_wait_loadcnt 0x0
	v_cmp_ne_u64_e32 vcc_lo, s[10:11], v[2:3]
	s_cbranch_vccnz .LBB0_2484
; %bb.2485:                             ;   in Loop: Header=BB0_2003 Depth=1
	s_add_co_i32 s10, s8, 0xf1
	s_mov_b32 s11, s9
	s_delay_alu instid0(SALU_CYCLE_1)
	v_mov_b64_e32 v[2:3], s[10:11]
	s_wait_xcnt 0x0
	global_store_b64 v0, v[2:3], s[6:7] scope:SCOPE_SYS
.LBB0_2486:                             ;   Parent Loop BB0_2003 Depth=1
                                        ; =>  This Inner Loop Header: Depth=2
	global_load_b64 v[2:3], v0, s[4:5] scope:SCOPE_SYS
	s_wait_loadcnt 0x0
	v_cmp_ne_u64_e32 vcc_lo, s[10:11], v[2:3]
	s_cbranch_vccnz .LBB0_2486
; %bb.2487:                             ;   in Loop: Header=BB0_2003 Depth=1
	s_add_co_i32 s10, s8, 0xf2
	s_mov_b32 s11, s9
	s_delay_alu instid0(SALU_CYCLE_1)
	v_mov_b64_e32 v[2:3], s[10:11]
	s_wait_xcnt 0x0
	global_store_b64 v0, v[2:3], s[6:7] scope:SCOPE_SYS
.LBB0_2488:                             ;   Parent Loop BB0_2003 Depth=1
                                        ; =>  This Inner Loop Header: Depth=2
	global_load_b64 v[2:3], v0, s[4:5] scope:SCOPE_SYS
	s_wait_loadcnt 0x0
	v_cmp_ne_u64_e32 vcc_lo, s[10:11], v[2:3]
	s_cbranch_vccnz .LBB0_2488
; %bb.2489:                             ;   in Loop: Header=BB0_2003 Depth=1
	s_add_co_i32 s10, s8, 0xf3
	s_mov_b32 s11, s9
	s_delay_alu instid0(SALU_CYCLE_1)
	v_mov_b64_e32 v[2:3], s[10:11]
	s_wait_xcnt 0x0
	global_store_b64 v0, v[2:3], s[6:7] scope:SCOPE_SYS
.LBB0_2490:                             ;   Parent Loop BB0_2003 Depth=1
                                        ; =>  This Inner Loop Header: Depth=2
	global_load_b64 v[2:3], v0, s[4:5] scope:SCOPE_SYS
	s_wait_loadcnt 0x0
	v_cmp_ne_u64_e32 vcc_lo, s[10:11], v[2:3]
	s_cbranch_vccnz .LBB0_2490
; %bb.2491:                             ;   in Loop: Header=BB0_2003 Depth=1
	s_add_co_i32 s10, s8, 0xf4
	s_mov_b32 s11, s9
	s_delay_alu instid0(SALU_CYCLE_1)
	v_mov_b64_e32 v[2:3], s[10:11]
	s_wait_xcnt 0x0
	global_store_b64 v0, v[2:3], s[6:7] scope:SCOPE_SYS
.LBB0_2492:                             ;   Parent Loop BB0_2003 Depth=1
                                        ; =>  This Inner Loop Header: Depth=2
	global_load_b64 v[2:3], v0, s[4:5] scope:SCOPE_SYS
	s_wait_loadcnt 0x0
	v_cmp_ne_u64_e32 vcc_lo, s[10:11], v[2:3]
	s_cbranch_vccnz .LBB0_2492
; %bb.2493:                             ;   in Loop: Header=BB0_2003 Depth=1
	s_add_co_i32 s10, s8, 0xf5
	s_mov_b32 s11, s9
	s_delay_alu instid0(SALU_CYCLE_1)
	v_mov_b64_e32 v[2:3], s[10:11]
	s_wait_xcnt 0x0
	global_store_b64 v0, v[2:3], s[6:7] scope:SCOPE_SYS
.LBB0_2494:                             ;   Parent Loop BB0_2003 Depth=1
                                        ; =>  This Inner Loop Header: Depth=2
	global_load_b64 v[2:3], v0, s[4:5] scope:SCOPE_SYS
	s_wait_loadcnt 0x0
	v_cmp_ne_u64_e32 vcc_lo, s[10:11], v[2:3]
	s_cbranch_vccnz .LBB0_2494
; %bb.2495:                             ;   in Loop: Header=BB0_2003 Depth=1
	s_add_co_i32 s10, s8, 0xf6
	s_mov_b32 s11, s9
	s_delay_alu instid0(SALU_CYCLE_1)
	v_mov_b64_e32 v[2:3], s[10:11]
	s_wait_xcnt 0x0
	global_store_b64 v0, v[2:3], s[6:7] scope:SCOPE_SYS
.LBB0_2496:                             ;   Parent Loop BB0_2003 Depth=1
                                        ; =>  This Inner Loop Header: Depth=2
	global_load_b64 v[2:3], v0, s[4:5] scope:SCOPE_SYS
	s_wait_loadcnt 0x0
	v_cmp_ne_u64_e32 vcc_lo, s[10:11], v[2:3]
	s_cbranch_vccnz .LBB0_2496
; %bb.2497:                             ;   in Loop: Header=BB0_2003 Depth=1
	s_add_co_i32 s10, s8, 0xf7
	s_mov_b32 s11, s9
	s_delay_alu instid0(SALU_CYCLE_1)
	v_mov_b64_e32 v[2:3], s[10:11]
	s_wait_xcnt 0x0
	global_store_b64 v0, v[2:3], s[6:7] scope:SCOPE_SYS
.LBB0_2498:                             ;   Parent Loop BB0_2003 Depth=1
                                        ; =>  This Inner Loop Header: Depth=2
	global_load_b64 v[2:3], v0, s[4:5] scope:SCOPE_SYS
	s_wait_loadcnt 0x0
	v_cmp_ne_u64_e32 vcc_lo, s[10:11], v[2:3]
	s_cbranch_vccnz .LBB0_2498
; %bb.2499:                             ;   in Loop: Header=BB0_2003 Depth=1
	s_add_co_i32 s10, s8, 0xf8
	s_mov_b32 s11, s9
	s_delay_alu instid0(SALU_CYCLE_1)
	v_mov_b64_e32 v[2:3], s[10:11]
	s_wait_xcnt 0x0
	global_store_b64 v0, v[2:3], s[6:7] scope:SCOPE_SYS
.LBB0_2500:                             ;   Parent Loop BB0_2003 Depth=1
                                        ; =>  This Inner Loop Header: Depth=2
	global_load_b64 v[2:3], v0, s[4:5] scope:SCOPE_SYS
	s_wait_loadcnt 0x0
	v_cmp_ne_u64_e32 vcc_lo, s[10:11], v[2:3]
	s_cbranch_vccnz .LBB0_2500
; %bb.2501:                             ;   in Loop: Header=BB0_2003 Depth=1
	s_add_co_i32 s10, s8, 0xf9
	s_mov_b32 s11, s9
	s_delay_alu instid0(SALU_CYCLE_1)
	v_mov_b64_e32 v[2:3], s[10:11]
	s_wait_xcnt 0x0
	global_store_b64 v0, v[2:3], s[6:7] scope:SCOPE_SYS
.LBB0_2502:                             ;   Parent Loop BB0_2003 Depth=1
                                        ; =>  This Inner Loop Header: Depth=2
	global_load_b64 v[2:3], v0, s[4:5] scope:SCOPE_SYS
	s_wait_loadcnt 0x0
	v_cmp_ne_u64_e32 vcc_lo, s[10:11], v[2:3]
	s_cbranch_vccnz .LBB0_2502
; %bb.2503:                             ;   in Loop: Header=BB0_2003 Depth=1
	s_add_co_i32 s10, s8, 0xfa
	s_mov_b32 s11, s9
	s_delay_alu instid0(SALU_CYCLE_1)
	v_mov_b64_e32 v[2:3], s[10:11]
	s_wait_xcnt 0x0
	global_store_b64 v0, v[2:3], s[6:7] scope:SCOPE_SYS
.LBB0_2504:                             ;   Parent Loop BB0_2003 Depth=1
                                        ; =>  This Inner Loop Header: Depth=2
	global_load_b64 v[2:3], v0, s[4:5] scope:SCOPE_SYS
	s_wait_loadcnt 0x0
	v_cmp_ne_u64_e32 vcc_lo, s[10:11], v[2:3]
	s_cbranch_vccnz .LBB0_2504
; %bb.2505:                             ;   in Loop: Header=BB0_2003 Depth=1
	s_add_co_i32 s10, s8, 0xfb
	s_mov_b32 s11, s9
	s_delay_alu instid0(SALU_CYCLE_1)
	v_mov_b64_e32 v[2:3], s[10:11]
	s_wait_xcnt 0x0
	global_store_b64 v0, v[2:3], s[6:7] scope:SCOPE_SYS
.LBB0_2506:                             ;   Parent Loop BB0_2003 Depth=1
                                        ; =>  This Inner Loop Header: Depth=2
	global_load_b64 v[2:3], v0, s[4:5] scope:SCOPE_SYS
	s_wait_loadcnt 0x0
	v_cmp_ne_u64_e32 vcc_lo, s[10:11], v[2:3]
	s_cbranch_vccnz .LBB0_2506
; %bb.2507:                             ;   in Loop: Header=BB0_2003 Depth=1
	s_add_co_i32 s10, s8, 0xfc
	s_mov_b32 s11, s9
	s_delay_alu instid0(SALU_CYCLE_1)
	v_mov_b64_e32 v[2:3], s[10:11]
	s_wait_xcnt 0x0
	global_store_b64 v0, v[2:3], s[6:7] scope:SCOPE_SYS
.LBB0_2508:                             ;   Parent Loop BB0_2003 Depth=1
                                        ; =>  This Inner Loop Header: Depth=2
	global_load_b64 v[2:3], v0, s[4:5] scope:SCOPE_SYS
	s_wait_loadcnt 0x0
	v_cmp_ne_u64_e32 vcc_lo, s[10:11], v[2:3]
	s_cbranch_vccnz .LBB0_2508
; %bb.2509:                             ;   in Loop: Header=BB0_2003 Depth=1
	s_add_co_i32 s10, s8, 0xfd
	s_mov_b32 s11, s9
	s_delay_alu instid0(SALU_CYCLE_1)
	v_mov_b64_e32 v[2:3], s[10:11]
	s_wait_xcnt 0x0
	global_store_b64 v0, v[2:3], s[6:7] scope:SCOPE_SYS
.LBB0_2510:                             ;   Parent Loop BB0_2003 Depth=1
                                        ; =>  This Inner Loop Header: Depth=2
	global_load_b64 v[2:3], v0, s[4:5] scope:SCOPE_SYS
	s_wait_loadcnt 0x0
	v_cmp_ne_u64_e32 vcc_lo, s[10:11], v[2:3]
	s_cbranch_vccnz .LBB0_2510
; %bb.2511:                             ;   in Loop: Header=BB0_2003 Depth=1
	s_add_co_i32 s10, s8, 0xfe
	s_mov_b32 s11, s9
	s_delay_alu instid0(SALU_CYCLE_1)
	v_mov_b64_e32 v[2:3], s[10:11]
	s_wait_xcnt 0x0
	global_store_b64 v0, v[2:3], s[6:7] scope:SCOPE_SYS
.LBB0_2512:                             ;   Parent Loop BB0_2003 Depth=1
                                        ; =>  This Inner Loop Header: Depth=2
	global_load_b64 v[2:3], v0, s[4:5] scope:SCOPE_SYS
	s_wait_loadcnt 0x0
	v_cmp_ne_u64_e32 vcc_lo, s[10:11], v[2:3]
	s_cbranch_vccnz .LBB0_2512
; %bb.2513:                             ;   in Loop: Header=BB0_2003 Depth=1
	s_add_co_i32 s10, s8, 0xff
	s_mov_b32 s11, s9
	s_delay_alu instid0(SALU_CYCLE_1)
	v_mov_b64_e32 v[2:3], s[10:11]
	s_wait_xcnt 0x0
	global_store_b64 v0, v[2:3], s[6:7] scope:SCOPE_SYS
.LBB0_2514:                             ;   Parent Loop BB0_2003 Depth=1
                                        ; =>  This Inner Loop Header: Depth=2
	global_load_b64 v[2:3], v0, s[4:5] scope:SCOPE_SYS
	s_wait_loadcnt 0x0
	v_cmp_ne_u64_e32 vcc_lo, s[10:11], v[2:3]
	s_cbranch_vccnz .LBB0_2514
; %bb.2515:                             ;   in Loop: Header=BB0_2003 Depth=1
	s_add_co_i32 s10, s8, 0x100
	s_mov_b32 s11, s9
	s_delay_alu instid0(SALU_CYCLE_1)
	v_mov_b64_e32 v[2:3], s[10:11]
	s_wait_xcnt 0x0
	global_store_b64 v0, v[2:3], s[6:7] scope:SCOPE_SYS
.LBB0_2516:                             ;   Parent Loop BB0_2003 Depth=1
                                        ; =>  This Inner Loop Header: Depth=2
	global_load_b64 v[2:3], v0, s[4:5] scope:SCOPE_SYS
	s_wait_loadcnt 0x0
	v_cmp_ne_u64_e32 vcc_lo, s[10:11], v[2:3]
	s_cbranch_vccnz .LBB0_2516
; %bb.2517:                             ;   in Loop: Header=BB0_2003 Depth=1
	s_add_co_i32 s10, s8, 0x101
	s_mov_b32 s11, s9
	s_delay_alu instid0(SALU_CYCLE_1)
	v_mov_b64_e32 v[2:3], s[10:11]
	s_wait_xcnt 0x0
	global_store_b64 v0, v[2:3], s[6:7] scope:SCOPE_SYS
.LBB0_2518:                             ;   Parent Loop BB0_2003 Depth=1
                                        ; =>  This Inner Loop Header: Depth=2
	global_load_b64 v[2:3], v0, s[4:5] scope:SCOPE_SYS
	s_wait_loadcnt 0x0
	v_cmp_ne_u64_e32 vcc_lo, s[10:11], v[2:3]
	s_cbranch_vccnz .LBB0_2518
; %bb.2519:                             ;   in Loop: Header=BB0_2003 Depth=1
	s_add_co_i32 s10, s8, 0x102
	s_mov_b32 s11, s9
	s_delay_alu instid0(SALU_CYCLE_1)
	v_mov_b64_e32 v[2:3], s[10:11]
	s_wait_xcnt 0x0
	global_store_b64 v0, v[2:3], s[6:7] scope:SCOPE_SYS
.LBB0_2520:                             ;   Parent Loop BB0_2003 Depth=1
                                        ; =>  This Inner Loop Header: Depth=2
	global_load_b64 v[2:3], v0, s[4:5] scope:SCOPE_SYS
	s_wait_loadcnt 0x0
	v_cmp_ne_u64_e32 vcc_lo, s[10:11], v[2:3]
	s_cbranch_vccnz .LBB0_2520
; %bb.2521:                             ;   in Loop: Header=BB0_2003 Depth=1
	s_add_co_i32 s10, s8, 0x103
	s_mov_b32 s11, s9
	s_delay_alu instid0(SALU_CYCLE_1)
	v_mov_b64_e32 v[2:3], s[10:11]
	s_wait_xcnt 0x0
	global_store_b64 v0, v[2:3], s[6:7] scope:SCOPE_SYS
.LBB0_2522:                             ;   Parent Loop BB0_2003 Depth=1
                                        ; =>  This Inner Loop Header: Depth=2
	global_load_b64 v[2:3], v0, s[4:5] scope:SCOPE_SYS
	s_wait_loadcnt 0x0
	v_cmp_ne_u64_e32 vcc_lo, s[10:11], v[2:3]
	s_cbranch_vccnz .LBB0_2522
; %bb.2523:                             ;   in Loop: Header=BB0_2003 Depth=1
	s_add_co_i32 s10, s8, 0x104
	s_mov_b32 s11, s9
	s_delay_alu instid0(SALU_CYCLE_1)
	v_mov_b64_e32 v[2:3], s[10:11]
	s_wait_xcnt 0x0
	global_store_b64 v0, v[2:3], s[6:7] scope:SCOPE_SYS
.LBB0_2524:                             ;   Parent Loop BB0_2003 Depth=1
                                        ; =>  This Inner Loop Header: Depth=2
	global_load_b64 v[2:3], v0, s[4:5] scope:SCOPE_SYS
	s_wait_loadcnt 0x0
	v_cmp_ne_u64_e32 vcc_lo, s[10:11], v[2:3]
	s_cbranch_vccnz .LBB0_2524
; %bb.2525:                             ;   in Loop: Header=BB0_2003 Depth=1
	s_add_co_i32 s10, s8, 0x105
	s_mov_b32 s11, s9
	s_delay_alu instid0(SALU_CYCLE_1)
	v_mov_b64_e32 v[2:3], s[10:11]
	s_wait_xcnt 0x0
	global_store_b64 v0, v[2:3], s[6:7] scope:SCOPE_SYS
.LBB0_2526:                             ;   Parent Loop BB0_2003 Depth=1
                                        ; =>  This Inner Loop Header: Depth=2
	global_load_b64 v[2:3], v0, s[4:5] scope:SCOPE_SYS
	s_wait_loadcnt 0x0
	v_cmp_ne_u64_e32 vcc_lo, s[10:11], v[2:3]
	s_cbranch_vccnz .LBB0_2526
; %bb.2527:                             ;   in Loop: Header=BB0_2003 Depth=1
	s_add_co_i32 s10, s8, 0x106
	s_mov_b32 s11, s9
	s_delay_alu instid0(SALU_CYCLE_1)
	v_mov_b64_e32 v[2:3], s[10:11]
	s_wait_xcnt 0x0
	global_store_b64 v0, v[2:3], s[6:7] scope:SCOPE_SYS
.LBB0_2528:                             ;   Parent Loop BB0_2003 Depth=1
                                        ; =>  This Inner Loop Header: Depth=2
	global_load_b64 v[2:3], v0, s[4:5] scope:SCOPE_SYS
	s_wait_loadcnt 0x0
	v_cmp_ne_u64_e32 vcc_lo, s[10:11], v[2:3]
	s_cbranch_vccnz .LBB0_2528
; %bb.2529:                             ;   in Loop: Header=BB0_2003 Depth=1
	s_add_co_i32 s10, s8, 0x107
	s_mov_b32 s11, s9
	s_delay_alu instid0(SALU_CYCLE_1)
	v_mov_b64_e32 v[2:3], s[10:11]
	s_wait_xcnt 0x0
	global_store_b64 v0, v[2:3], s[6:7] scope:SCOPE_SYS
.LBB0_2530:                             ;   Parent Loop BB0_2003 Depth=1
                                        ; =>  This Inner Loop Header: Depth=2
	global_load_b64 v[2:3], v0, s[4:5] scope:SCOPE_SYS
	s_wait_loadcnt 0x0
	v_cmp_ne_u64_e32 vcc_lo, s[10:11], v[2:3]
	s_cbranch_vccnz .LBB0_2530
; %bb.2531:                             ;   in Loop: Header=BB0_2003 Depth=1
	s_add_co_i32 s10, s8, 0x108
	s_mov_b32 s11, s9
	s_delay_alu instid0(SALU_CYCLE_1)
	v_mov_b64_e32 v[2:3], s[10:11]
	s_wait_xcnt 0x0
	global_store_b64 v0, v[2:3], s[6:7] scope:SCOPE_SYS
.LBB0_2532:                             ;   Parent Loop BB0_2003 Depth=1
                                        ; =>  This Inner Loop Header: Depth=2
	global_load_b64 v[2:3], v0, s[4:5] scope:SCOPE_SYS
	s_wait_loadcnt 0x0
	v_cmp_ne_u64_e32 vcc_lo, s[10:11], v[2:3]
	s_cbranch_vccnz .LBB0_2532
; %bb.2533:                             ;   in Loop: Header=BB0_2003 Depth=1
	s_add_co_i32 s10, s8, 0x109
	s_mov_b32 s11, s9
	s_delay_alu instid0(SALU_CYCLE_1)
	v_mov_b64_e32 v[2:3], s[10:11]
	s_wait_xcnt 0x0
	global_store_b64 v0, v[2:3], s[6:7] scope:SCOPE_SYS
.LBB0_2534:                             ;   Parent Loop BB0_2003 Depth=1
                                        ; =>  This Inner Loop Header: Depth=2
	global_load_b64 v[2:3], v0, s[4:5] scope:SCOPE_SYS
	s_wait_loadcnt 0x0
	v_cmp_ne_u64_e32 vcc_lo, s[10:11], v[2:3]
	s_cbranch_vccnz .LBB0_2534
; %bb.2535:                             ;   in Loop: Header=BB0_2003 Depth=1
	s_add_co_i32 s10, s8, 0x10a
	s_mov_b32 s11, s9
	s_delay_alu instid0(SALU_CYCLE_1)
	v_mov_b64_e32 v[2:3], s[10:11]
	s_wait_xcnt 0x0
	global_store_b64 v0, v[2:3], s[6:7] scope:SCOPE_SYS
.LBB0_2536:                             ;   Parent Loop BB0_2003 Depth=1
                                        ; =>  This Inner Loop Header: Depth=2
	global_load_b64 v[2:3], v0, s[4:5] scope:SCOPE_SYS
	s_wait_loadcnt 0x0
	v_cmp_ne_u64_e32 vcc_lo, s[10:11], v[2:3]
	s_cbranch_vccnz .LBB0_2536
; %bb.2537:                             ;   in Loop: Header=BB0_2003 Depth=1
	s_add_co_i32 s10, s8, 0x10b
	s_mov_b32 s11, s9
	s_delay_alu instid0(SALU_CYCLE_1)
	v_mov_b64_e32 v[2:3], s[10:11]
	s_wait_xcnt 0x0
	global_store_b64 v0, v[2:3], s[6:7] scope:SCOPE_SYS
.LBB0_2538:                             ;   Parent Loop BB0_2003 Depth=1
                                        ; =>  This Inner Loop Header: Depth=2
	global_load_b64 v[2:3], v0, s[4:5] scope:SCOPE_SYS
	s_wait_loadcnt 0x0
	v_cmp_ne_u64_e32 vcc_lo, s[10:11], v[2:3]
	s_cbranch_vccnz .LBB0_2538
; %bb.2539:                             ;   in Loop: Header=BB0_2003 Depth=1
	s_add_co_i32 s10, s8, 0x10c
	s_mov_b32 s11, s9
	s_delay_alu instid0(SALU_CYCLE_1)
	v_mov_b64_e32 v[2:3], s[10:11]
	s_wait_xcnt 0x0
	global_store_b64 v0, v[2:3], s[6:7] scope:SCOPE_SYS
.LBB0_2540:                             ;   Parent Loop BB0_2003 Depth=1
                                        ; =>  This Inner Loop Header: Depth=2
	global_load_b64 v[2:3], v0, s[4:5] scope:SCOPE_SYS
	s_wait_loadcnt 0x0
	v_cmp_ne_u64_e32 vcc_lo, s[10:11], v[2:3]
	s_cbranch_vccnz .LBB0_2540
; %bb.2541:                             ;   in Loop: Header=BB0_2003 Depth=1
	s_add_co_i32 s10, s8, 0x10d
	s_mov_b32 s11, s9
	s_delay_alu instid0(SALU_CYCLE_1)
	v_mov_b64_e32 v[2:3], s[10:11]
	s_wait_xcnt 0x0
	global_store_b64 v0, v[2:3], s[6:7] scope:SCOPE_SYS
.LBB0_2542:                             ;   Parent Loop BB0_2003 Depth=1
                                        ; =>  This Inner Loop Header: Depth=2
	global_load_b64 v[2:3], v0, s[4:5] scope:SCOPE_SYS
	s_wait_loadcnt 0x0
	v_cmp_ne_u64_e32 vcc_lo, s[10:11], v[2:3]
	s_cbranch_vccnz .LBB0_2542
; %bb.2543:                             ;   in Loop: Header=BB0_2003 Depth=1
	s_add_co_i32 s10, s8, 0x10e
	s_mov_b32 s11, s9
	s_delay_alu instid0(SALU_CYCLE_1)
	v_mov_b64_e32 v[2:3], s[10:11]
	s_wait_xcnt 0x0
	global_store_b64 v0, v[2:3], s[6:7] scope:SCOPE_SYS
.LBB0_2544:                             ;   Parent Loop BB0_2003 Depth=1
                                        ; =>  This Inner Loop Header: Depth=2
	global_load_b64 v[2:3], v0, s[4:5] scope:SCOPE_SYS
	s_wait_loadcnt 0x0
	v_cmp_ne_u64_e32 vcc_lo, s[10:11], v[2:3]
	s_cbranch_vccnz .LBB0_2544
; %bb.2545:                             ;   in Loop: Header=BB0_2003 Depth=1
	s_add_co_i32 s10, s8, 0x10f
	s_mov_b32 s11, s9
	s_delay_alu instid0(SALU_CYCLE_1)
	v_mov_b64_e32 v[2:3], s[10:11]
	s_wait_xcnt 0x0
	global_store_b64 v0, v[2:3], s[6:7] scope:SCOPE_SYS
.LBB0_2546:                             ;   Parent Loop BB0_2003 Depth=1
                                        ; =>  This Inner Loop Header: Depth=2
	global_load_b64 v[2:3], v0, s[4:5] scope:SCOPE_SYS
	s_wait_loadcnt 0x0
	v_cmp_ne_u64_e32 vcc_lo, s[10:11], v[2:3]
	s_cbranch_vccnz .LBB0_2546
; %bb.2547:                             ;   in Loop: Header=BB0_2003 Depth=1
	s_add_co_i32 s10, s8, 0x110
	s_mov_b32 s11, s9
	s_delay_alu instid0(SALU_CYCLE_1)
	v_mov_b64_e32 v[2:3], s[10:11]
	s_wait_xcnt 0x0
	global_store_b64 v0, v[2:3], s[6:7] scope:SCOPE_SYS
.LBB0_2548:                             ;   Parent Loop BB0_2003 Depth=1
                                        ; =>  This Inner Loop Header: Depth=2
	global_load_b64 v[2:3], v0, s[4:5] scope:SCOPE_SYS
	s_wait_loadcnt 0x0
	v_cmp_ne_u64_e32 vcc_lo, s[10:11], v[2:3]
	s_cbranch_vccnz .LBB0_2548
; %bb.2549:                             ;   in Loop: Header=BB0_2003 Depth=1
	s_add_co_i32 s10, s8, 0x111
	s_mov_b32 s11, s9
	s_delay_alu instid0(SALU_CYCLE_1)
	v_mov_b64_e32 v[2:3], s[10:11]
	s_wait_xcnt 0x0
	global_store_b64 v0, v[2:3], s[6:7] scope:SCOPE_SYS
.LBB0_2550:                             ;   Parent Loop BB0_2003 Depth=1
                                        ; =>  This Inner Loop Header: Depth=2
	global_load_b64 v[2:3], v0, s[4:5] scope:SCOPE_SYS
	s_wait_loadcnt 0x0
	v_cmp_ne_u64_e32 vcc_lo, s[10:11], v[2:3]
	s_cbranch_vccnz .LBB0_2550
; %bb.2551:                             ;   in Loop: Header=BB0_2003 Depth=1
	s_add_co_i32 s10, s8, 0x112
	s_mov_b32 s11, s9
	s_delay_alu instid0(SALU_CYCLE_1)
	v_mov_b64_e32 v[2:3], s[10:11]
	s_wait_xcnt 0x0
	global_store_b64 v0, v[2:3], s[6:7] scope:SCOPE_SYS
.LBB0_2552:                             ;   Parent Loop BB0_2003 Depth=1
                                        ; =>  This Inner Loop Header: Depth=2
	global_load_b64 v[2:3], v0, s[4:5] scope:SCOPE_SYS
	s_wait_loadcnt 0x0
	v_cmp_ne_u64_e32 vcc_lo, s[10:11], v[2:3]
	s_cbranch_vccnz .LBB0_2552
; %bb.2553:                             ;   in Loop: Header=BB0_2003 Depth=1
	s_add_co_i32 s10, s8, 0x113
	s_mov_b32 s11, s9
	s_delay_alu instid0(SALU_CYCLE_1)
	v_mov_b64_e32 v[2:3], s[10:11]
	s_wait_xcnt 0x0
	global_store_b64 v0, v[2:3], s[6:7] scope:SCOPE_SYS
.LBB0_2554:                             ;   Parent Loop BB0_2003 Depth=1
                                        ; =>  This Inner Loop Header: Depth=2
	global_load_b64 v[2:3], v0, s[4:5] scope:SCOPE_SYS
	s_wait_loadcnt 0x0
	v_cmp_ne_u64_e32 vcc_lo, s[10:11], v[2:3]
	s_cbranch_vccnz .LBB0_2554
; %bb.2555:                             ;   in Loop: Header=BB0_2003 Depth=1
	s_add_co_i32 s10, s8, 0x114
	s_mov_b32 s11, s9
	s_delay_alu instid0(SALU_CYCLE_1)
	v_mov_b64_e32 v[2:3], s[10:11]
	s_wait_xcnt 0x0
	global_store_b64 v0, v[2:3], s[6:7] scope:SCOPE_SYS
.LBB0_2556:                             ;   Parent Loop BB0_2003 Depth=1
                                        ; =>  This Inner Loop Header: Depth=2
	global_load_b64 v[2:3], v0, s[4:5] scope:SCOPE_SYS
	s_wait_loadcnt 0x0
	v_cmp_ne_u64_e32 vcc_lo, s[10:11], v[2:3]
	s_cbranch_vccnz .LBB0_2556
; %bb.2557:                             ;   in Loop: Header=BB0_2003 Depth=1
	s_add_co_i32 s10, s8, 0x115
	s_mov_b32 s11, s9
	s_delay_alu instid0(SALU_CYCLE_1)
	v_mov_b64_e32 v[2:3], s[10:11]
	s_wait_xcnt 0x0
	global_store_b64 v0, v[2:3], s[6:7] scope:SCOPE_SYS
.LBB0_2558:                             ;   Parent Loop BB0_2003 Depth=1
                                        ; =>  This Inner Loop Header: Depth=2
	global_load_b64 v[2:3], v0, s[4:5] scope:SCOPE_SYS
	s_wait_loadcnt 0x0
	v_cmp_ne_u64_e32 vcc_lo, s[10:11], v[2:3]
	s_cbranch_vccnz .LBB0_2558
; %bb.2559:                             ;   in Loop: Header=BB0_2003 Depth=1
	s_add_co_i32 s10, s8, 0x116
	s_mov_b32 s11, s9
	s_delay_alu instid0(SALU_CYCLE_1)
	v_mov_b64_e32 v[2:3], s[10:11]
	s_wait_xcnt 0x0
	global_store_b64 v0, v[2:3], s[6:7] scope:SCOPE_SYS
.LBB0_2560:                             ;   Parent Loop BB0_2003 Depth=1
                                        ; =>  This Inner Loop Header: Depth=2
	global_load_b64 v[2:3], v0, s[4:5] scope:SCOPE_SYS
	s_wait_loadcnt 0x0
	v_cmp_ne_u64_e32 vcc_lo, s[10:11], v[2:3]
	s_cbranch_vccnz .LBB0_2560
; %bb.2561:                             ;   in Loop: Header=BB0_2003 Depth=1
	s_add_co_i32 s10, s8, 0x117
	s_mov_b32 s11, s9
	s_delay_alu instid0(SALU_CYCLE_1)
	v_mov_b64_e32 v[2:3], s[10:11]
	s_wait_xcnt 0x0
	global_store_b64 v0, v[2:3], s[6:7] scope:SCOPE_SYS
.LBB0_2562:                             ;   Parent Loop BB0_2003 Depth=1
                                        ; =>  This Inner Loop Header: Depth=2
	global_load_b64 v[2:3], v0, s[4:5] scope:SCOPE_SYS
	s_wait_loadcnt 0x0
	v_cmp_ne_u64_e32 vcc_lo, s[10:11], v[2:3]
	s_cbranch_vccnz .LBB0_2562
; %bb.2563:                             ;   in Loop: Header=BB0_2003 Depth=1
	s_add_co_i32 s10, s8, 0x118
	s_mov_b32 s11, s9
	s_delay_alu instid0(SALU_CYCLE_1)
	v_mov_b64_e32 v[2:3], s[10:11]
	s_wait_xcnt 0x0
	global_store_b64 v0, v[2:3], s[6:7] scope:SCOPE_SYS
.LBB0_2564:                             ;   Parent Loop BB0_2003 Depth=1
                                        ; =>  This Inner Loop Header: Depth=2
	global_load_b64 v[2:3], v0, s[4:5] scope:SCOPE_SYS
	s_wait_loadcnt 0x0
	v_cmp_ne_u64_e32 vcc_lo, s[10:11], v[2:3]
	s_cbranch_vccnz .LBB0_2564
; %bb.2565:                             ;   in Loop: Header=BB0_2003 Depth=1
	s_add_co_i32 s10, s8, 0x119
	s_mov_b32 s11, s9
	s_delay_alu instid0(SALU_CYCLE_1)
	v_mov_b64_e32 v[2:3], s[10:11]
	s_wait_xcnt 0x0
	global_store_b64 v0, v[2:3], s[6:7] scope:SCOPE_SYS
.LBB0_2566:                             ;   Parent Loop BB0_2003 Depth=1
                                        ; =>  This Inner Loop Header: Depth=2
	global_load_b64 v[2:3], v0, s[4:5] scope:SCOPE_SYS
	s_wait_loadcnt 0x0
	v_cmp_ne_u64_e32 vcc_lo, s[10:11], v[2:3]
	s_cbranch_vccnz .LBB0_2566
; %bb.2567:                             ;   in Loop: Header=BB0_2003 Depth=1
	s_add_co_i32 s10, s8, 0x11a
	s_mov_b32 s11, s9
	s_delay_alu instid0(SALU_CYCLE_1)
	v_mov_b64_e32 v[2:3], s[10:11]
	s_wait_xcnt 0x0
	global_store_b64 v0, v[2:3], s[6:7] scope:SCOPE_SYS
.LBB0_2568:                             ;   Parent Loop BB0_2003 Depth=1
                                        ; =>  This Inner Loop Header: Depth=2
	global_load_b64 v[2:3], v0, s[4:5] scope:SCOPE_SYS
	s_wait_loadcnt 0x0
	v_cmp_ne_u64_e32 vcc_lo, s[10:11], v[2:3]
	s_cbranch_vccnz .LBB0_2568
; %bb.2569:                             ;   in Loop: Header=BB0_2003 Depth=1
	s_add_co_i32 s10, s8, 0x11b
	s_mov_b32 s11, s9
	s_delay_alu instid0(SALU_CYCLE_1)
	v_mov_b64_e32 v[2:3], s[10:11]
	s_wait_xcnt 0x0
	global_store_b64 v0, v[2:3], s[6:7] scope:SCOPE_SYS
.LBB0_2570:                             ;   Parent Loop BB0_2003 Depth=1
                                        ; =>  This Inner Loop Header: Depth=2
	global_load_b64 v[2:3], v0, s[4:5] scope:SCOPE_SYS
	s_wait_loadcnt 0x0
	v_cmp_ne_u64_e32 vcc_lo, s[10:11], v[2:3]
	s_cbranch_vccnz .LBB0_2570
; %bb.2571:                             ;   in Loop: Header=BB0_2003 Depth=1
	s_add_co_i32 s10, s8, 0x11c
	s_mov_b32 s11, s9
	s_delay_alu instid0(SALU_CYCLE_1)
	v_mov_b64_e32 v[2:3], s[10:11]
	s_wait_xcnt 0x0
	global_store_b64 v0, v[2:3], s[6:7] scope:SCOPE_SYS
.LBB0_2572:                             ;   Parent Loop BB0_2003 Depth=1
                                        ; =>  This Inner Loop Header: Depth=2
	global_load_b64 v[2:3], v0, s[4:5] scope:SCOPE_SYS
	s_wait_loadcnt 0x0
	v_cmp_ne_u64_e32 vcc_lo, s[10:11], v[2:3]
	s_cbranch_vccnz .LBB0_2572
; %bb.2573:                             ;   in Loop: Header=BB0_2003 Depth=1
	s_add_co_i32 s10, s8, 0x11d
	s_mov_b32 s11, s9
	s_delay_alu instid0(SALU_CYCLE_1)
	v_mov_b64_e32 v[2:3], s[10:11]
	s_wait_xcnt 0x0
	global_store_b64 v0, v[2:3], s[6:7] scope:SCOPE_SYS
.LBB0_2574:                             ;   Parent Loop BB0_2003 Depth=1
                                        ; =>  This Inner Loop Header: Depth=2
	global_load_b64 v[2:3], v0, s[4:5] scope:SCOPE_SYS
	s_wait_loadcnt 0x0
	v_cmp_ne_u64_e32 vcc_lo, s[10:11], v[2:3]
	s_cbranch_vccnz .LBB0_2574
; %bb.2575:                             ;   in Loop: Header=BB0_2003 Depth=1
	s_add_co_i32 s10, s8, 0x11e
	s_mov_b32 s11, s9
	s_delay_alu instid0(SALU_CYCLE_1)
	v_mov_b64_e32 v[2:3], s[10:11]
	s_wait_xcnt 0x0
	global_store_b64 v0, v[2:3], s[6:7] scope:SCOPE_SYS
.LBB0_2576:                             ;   Parent Loop BB0_2003 Depth=1
                                        ; =>  This Inner Loop Header: Depth=2
	global_load_b64 v[2:3], v0, s[4:5] scope:SCOPE_SYS
	s_wait_loadcnt 0x0
	v_cmp_ne_u64_e32 vcc_lo, s[10:11], v[2:3]
	s_cbranch_vccnz .LBB0_2576
; %bb.2577:                             ;   in Loop: Header=BB0_2003 Depth=1
	s_add_co_i32 s10, s8, 0x11f
	s_mov_b32 s11, s9
	s_delay_alu instid0(SALU_CYCLE_1)
	v_mov_b64_e32 v[2:3], s[10:11]
	s_wait_xcnt 0x0
	global_store_b64 v0, v[2:3], s[6:7] scope:SCOPE_SYS
.LBB0_2578:                             ;   Parent Loop BB0_2003 Depth=1
                                        ; =>  This Inner Loop Header: Depth=2
	global_load_b64 v[2:3], v0, s[4:5] scope:SCOPE_SYS
	s_wait_loadcnt 0x0
	v_cmp_ne_u64_e32 vcc_lo, s[10:11], v[2:3]
	s_cbranch_vccnz .LBB0_2578
; %bb.2579:                             ;   in Loop: Header=BB0_2003 Depth=1
	s_add_co_i32 s10, s8, 0x120
	s_mov_b32 s11, s9
	s_delay_alu instid0(SALU_CYCLE_1)
	v_mov_b64_e32 v[2:3], s[10:11]
	s_wait_xcnt 0x0
	global_store_b64 v0, v[2:3], s[6:7] scope:SCOPE_SYS
.LBB0_2580:                             ;   Parent Loop BB0_2003 Depth=1
                                        ; =>  This Inner Loop Header: Depth=2
	global_load_b64 v[2:3], v0, s[4:5] scope:SCOPE_SYS
	s_wait_loadcnt 0x0
	v_cmp_ne_u64_e32 vcc_lo, s[10:11], v[2:3]
	s_cbranch_vccnz .LBB0_2580
; %bb.2581:                             ;   in Loop: Header=BB0_2003 Depth=1
	s_add_co_i32 s10, s8, 0x121
	s_mov_b32 s11, s9
	s_delay_alu instid0(SALU_CYCLE_1)
	v_mov_b64_e32 v[2:3], s[10:11]
	s_wait_xcnt 0x0
	global_store_b64 v0, v[2:3], s[6:7] scope:SCOPE_SYS
.LBB0_2582:                             ;   Parent Loop BB0_2003 Depth=1
                                        ; =>  This Inner Loop Header: Depth=2
	global_load_b64 v[2:3], v0, s[4:5] scope:SCOPE_SYS
	s_wait_loadcnt 0x0
	v_cmp_ne_u64_e32 vcc_lo, s[10:11], v[2:3]
	s_cbranch_vccnz .LBB0_2582
; %bb.2583:                             ;   in Loop: Header=BB0_2003 Depth=1
	s_add_co_i32 s10, s8, 0x122
	s_mov_b32 s11, s9
	s_delay_alu instid0(SALU_CYCLE_1)
	v_mov_b64_e32 v[2:3], s[10:11]
	s_wait_xcnt 0x0
	global_store_b64 v0, v[2:3], s[6:7] scope:SCOPE_SYS
.LBB0_2584:                             ;   Parent Loop BB0_2003 Depth=1
                                        ; =>  This Inner Loop Header: Depth=2
	global_load_b64 v[2:3], v0, s[4:5] scope:SCOPE_SYS
	s_wait_loadcnt 0x0
	v_cmp_ne_u64_e32 vcc_lo, s[10:11], v[2:3]
	s_cbranch_vccnz .LBB0_2584
; %bb.2585:                             ;   in Loop: Header=BB0_2003 Depth=1
	s_add_co_i32 s10, s8, 0x123
	s_mov_b32 s11, s9
	s_delay_alu instid0(SALU_CYCLE_1)
	v_mov_b64_e32 v[2:3], s[10:11]
	s_wait_xcnt 0x0
	global_store_b64 v0, v[2:3], s[6:7] scope:SCOPE_SYS
.LBB0_2586:                             ;   Parent Loop BB0_2003 Depth=1
                                        ; =>  This Inner Loop Header: Depth=2
	global_load_b64 v[2:3], v0, s[4:5] scope:SCOPE_SYS
	s_wait_loadcnt 0x0
	v_cmp_ne_u64_e32 vcc_lo, s[10:11], v[2:3]
	s_cbranch_vccnz .LBB0_2586
; %bb.2587:                             ;   in Loop: Header=BB0_2003 Depth=1
	s_add_co_i32 s10, s8, 0x124
	s_mov_b32 s11, s9
	s_delay_alu instid0(SALU_CYCLE_1)
	v_mov_b64_e32 v[2:3], s[10:11]
	s_wait_xcnt 0x0
	global_store_b64 v0, v[2:3], s[6:7] scope:SCOPE_SYS
.LBB0_2588:                             ;   Parent Loop BB0_2003 Depth=1
                                        ; =>  This Inner Loop Header: Depth=2
	global_load_b64 v[2:3], v0, s[4:5] scope:SCOPE_SYS
	s_wait_loadcnt 0x0
	v_cmp_ne_u64_e32 vcc_lo, s[10:11], v[2:3]
	s_cbranch_vccnz .LBB0_2588
; %bb.2589:                             ;   in Loop: Header=BB0_2003 Depth=1
	s_add_co_i32 s10, s8, 0x125
	s_mov_b32 s11, s9
	s_delay_alu instid0(SALU_CYCLE_1)
	v_mov_b64_e32 v[2:3], s[10:11]
	s_wait_xcnt 0x0
	global_store_b64 v0, v[2:3], s[6:7] scope:SCOPE_SYS
.LBB0_2590:                             ;   Parent Loop BB0_2003 Depth=1
                                        ; =>  This Inner Loop Header: Depth=2
	global_load_b64 v[2:3], v0, s[4:5] scope:SCOPE_SYS
	s_wait_loadcnt 0x0
	v_cmp_ne_u64_e32 vcc_lo, s[10:11], v[2:3]
	s_cbranch_vccnz .LBB0_2590
; %bb.2591:                             ;   in Loop: Header=BB0_2003 Depth=1
	s_add_co_i32 s10, s8, 0x126
	s_mov_b32 s11, s9
	s_delay_alu instid0(SALU_CYCLE_1)
	v_mov_b64_e32 v[2:3], s[10:11]
	s_wait_xcnt 0x0
	global_store_b64 v0, v[2:3], s[6:7] scope:SCOPE_SYS
.LBB0_2592:                             ;   Parent Loop BB0_2003 Depth=1
                                        ; =>  This Inner Loop Header: Depth=2
	global_load_b64 v[2:3], v0, s[4:5] scope:SCOPE_SYS
	s_wait_loadcnt 0x0
	v_cmp_ne_u64_e32 vcc_lo, s[10:11], v[2:3]
	s_cbranch_vccnz .LBB0_2592
; %bb.2593:                             ;   in Loop: Header=BB0_2003 Depth=1
	s_add_co_i32 s10, s8, 0x127
	s_mov_b32 s11, s9
	s_delay_alu instid0(SALU_CYCLE_1)
	v_mov_b64_e32 v[2:3], s[10:11]
	s_wait_xcnt 0x0
	global_store_b64 v0, v[2:3], s[6:7] scope:SCOPE_SYS
.LBB0_2594:                             ;   Parent Loop BB0_2003 Depth=1
                                        ; =>  This Inner Loop Header: Depth=2
	global_load_b64 v[2:3], v0, s[4:5] scope:SCOPE_SYS
	s_wait_loadcnt 0x0
	v_cmp_ne_u64_e32 vcc_lo, s[10:11], v[2:3]
	s_cbranch_vccnz .LBB0_2594
; %bb.2595:                             ;   in Loop: Header=BB0_2003 Depth=1
	s_add_co_i32 s10, s8, 0x128
	s_mov_b32 s11, s9
	s_delay_alu instid0(SALU_CYCLE_1)
	v_mov_b64_e32 v[2:3], s[10:11]
	s_wait_xcnt 0x0
	global_store_b64 v0, v[2:3], s[6:7] scope:SCOPE_SYS
.LBB0_2596:                             ;   Parent Loop BB0_2003 Depth=1
                                        ; =>  This Inner Loop Header: Depth=2
	global_load_b64 v[2:3], v0, s[4:5] scope:SCOPE_SYS
	s_wait_loadcnt 0x0
	v_cmp_ne_u64_e32 vcc_lo, s[10:11], v[2:3]
	s_cbranch_vccnz .LBB0_2596
; %bb.2597:                             ;   in Loop: Header=BB0_2003 Depth=1
	s_add_co_i32 s10, s8, 0x129
	s_mov_b32 s11, s9
	s_delay_alu instid0(SALU_CYCLE_1)
	v_mov_b64_e32 v[2:3], s[10:11]
	s_wait_xcnt 0x0
	global_store_b64 v0, v[2:3], s[6:7] scope:SCOPE_SYS
.LBB0_2598:                             ;   Parent Loop BB0_2003 Depth=1
                                        ; =>  This Inner Loop Header: Depth=2
	global_load_b64 v[2:3], v0, s[4:5] scope:SCOPE_SYS
	s_wait_loadcnt 0x0
	v_cmp_ne_u64_e32 vcc_lo, s[10:11], v[2:3]
	s_cbranch_vccnz .LBB0_2598
; %bb.2599:                             ;   in Loop: Header=BB0_2003 Depth=1
	s_add_co_i32 s10, s8, 0x12a
	s_mov_b32 s11, s9
	s_delay_alu instid0(SALU_CYCLE_1)
	v_mov_b64_e32 v[2:3], s[10:11]
	s_wait_xcnt 0x0
	global_store_b64 v0, v[2:3], s[6:7] scope:SCOPE_SYS
.LBB0_2600:                             ;   Parent Loop BB0_2003 Depth=1
                                        ; =>  This Inner Loop Header: Depth=2
	global_load_b64 v[2:3], v0, s[4:5] scope:SCOPE_SYS
	s_wait_loadcnt 0x0
	v_cmp_ne_u64_e32 vcc_lo, s[10:11], v[2:3]
	s_cbranch_vccnz .LBB0_2600
; %bb.2601:                             ;   in Loop: Header=BB0_2003 Depth=1
	s_add_co_i32 s10, s8, 0x12b
	s_mov_b32 s11, s9
	s_delay_alu instid0(SALU_CYCLE_1)
	v_mov_b64_e32 v[2:3], s[10:11]
	s_wait_xcnt 0x0
	global_store_b64 v0, v[2:3], s[6:7] scope:SCOPE_SYS
.LBB0_2602:                             ;   Parent Loop BB0_2003 Depth=1
                                        ; =>  This Inner Loop Header: Depth=2
	global_load_b64 v[2:3], v0, s[4:5] scope:SCOPE_SYS
	s_wait_loadcnt 0x0
	v_cmp_ne_u64_e32 vcc_lo, s[10:11], v[2:3]
	s_cbranch_vccnz .LBB0_2602
; %bb.2603:                             ;   in Loop: Header=BB0_2003 Depth=1
	s_add_co_i32 s10, s8, 0x12c
	s_mov_b32 s11, s9
	s_delay_alu instid0(SALU_CYCLE_1)
	v_mov_b64_e32 v[2:3], s[10:11]
	s_wait_xcnt 0x0
	global_store_b64 v0, v[2:3], s[6:7] scope:SCOPE_SYS
.LBB0_2604:                             ;   Parent Loop BB0_2003 Depth=1
                                        ; =>  This Inner Loop Header: Depth=2
	global_load_b64 v[2:3], v0, s[4:5] scope:SCOPE_SYS
	s_wait_loadcnt 0x0
	v_cmp_ne_u64_e32 vcc_lo, s[10:11], v[2:3]
	s_cbranch_vccnz .LBB0_2604
; %bb.2605:                             ;   in Loop: Header=BB0_2003 Depth=1
	s_add_co_i32 s10, s8, 0x12d
	s_mov_b32 s11, s9
	s_delay_alu instid0(SALU_CYCLE_1)
	v_mov_b64_e32 v[2:3], s[10:11]
	s_wait_xcnt 0x0
	global_store_b64 v0, v[2:3], s[6:7] scope:SCOPE_SYS
.LBB0_2606:                             ;   Parent Loop BB0_2003 Depth=1
                                        ; =>  This Inner Loop Header: Depth=2
	global_load_b64 v[2:3], v0, s[4:5] scope:SCOPE_SYS
	s_wait_loadcnt 0x0
	v_cmp_ne_u64_e32 vcc_lo, s[10:11], v[2:3]
	s_cbranch_vccnz .LBB0_2606
; %bb.2607:                             ;   in Loop: Header=BB0_2003 Depth=1
	s_add_co_i32 s10, s8, 0x12e
	s_mov_b32 s11, s9
	s_delay_alu instid0(SALU_CYCLE_1)
	v_mov_b64_e32 v[2:3], s[10:11]
	s_wait_xcnt 0x0
	global_store_b64 v0, v[2:3], s[6:7] scope:SCOPE_SYS
.LBB0_2608:                             ;   Parent Loop BB0_2003 Depth=1
                                        ; =>  This Inner Loop Header: Depth=2
	global_load_b64 v[2:3], v0, s[4:5] scope:SCOPE_SYS
	s_wait_loadcnt 0x0
	v_cmp_ne_u64_e32 vcc_lo, s[10:11], v[2:3]
	s_cbranch_vccnz .LBB0_2608
; %bb.2609:                             ;   in Loop: Header=BB0_2003 Depth=1
	s_add_co_i32 s10, s8, 0x12f
	s_mov_b32 s11, s9
	s_delay_alu instid0(SALU_CYCLE_1)
	v_mov_b64_e32 v[2:3], s[10:11]
	s_wait_xcnt 0x0
	global_store_b64 v0, v[2:3], s[6:7] scope:SCOPE_SYS
.LBB0_2610:                             ;   Parent Loop BB0_2003 Depth=1
                                        ; =>  This Inner Loop Header: Depth=2
	global_load_b64 v[2:3], v0, s[4:5] scope:SCOPE_SYS
	s_wait_loadcnt 0x0
	v_cmp_ne_u64_e32 vcc_lo, s[10:11], v[2:3]
	s_cbranch_vccnz .LBB0_2610
; %bb.2611:                             ;   in Loop: Header=BB0_2003 Depth=1
	s_add_co_i32 s10, s8, 0x130
	s_mov_b32 s11, s9
	s_delay_alu instid0(SALU_CYCLE_1)
	v_mov_b64_e32 v[2:3], s[10:11]
	s_wait_xcnt 0x0
	global_store_b64 v0, v[2:3], s[6:7] scope:SCOPE_SYS
.LBB0_2612:                             ;   Parent Loop BB0_2003 Depth=1
                                        ; =>  This Inner Loop Header: Depth=2
	global_load_b64 v[2:3], v0, s[4:5] scope:SCOPE_SYS
	s_wait_loadcnt 0x0
	v_cmp_ne_u64_e32 vcc_lo, s[10:11], v[2:3]
	s_cbranch_vccnz .LBB0_2612
; %bb.2613:                             ;   in Loop: Header=BB0_2003 Depth=1
	s_add_co_i32 s10, s8, 0x131
	s_mov_b32 s11, s9
	s_delay_alu instid0(SALU_CYCLE_1)
	v_mov_b64_e32 v[2:3], s[10:11]
	s_wait_xcnt 0x0
	global_store_b64 v0, v[2:3], s[6:7] scope:SCOPE_SYS
.LBB0_2614:                             ;   Parent Loop BB0_2003 Depth=1
                                        ; =>  This Inner Loop Header: Depth=2
	global_load_b64 v[2:3], v0, s[4:5] scope:SCOPE_SYS
	s_wait_loadcnt 0x0
	v_cmp_ne_u64_e32 vcc_lo, s[10:11], v[2:3]
	s_cbranch_vccnz .LBB0_2614
; %bb.2615:                             ;   in Loop: Header=BB0_2003 Depth=1
	s_add_co_i32 s10, s8, 0x132
	s_mov_b32 s11, s9
	s_delay_alu instid0(SALU_CYCLE_1)
	v_mov_b64_e32 v[2:3], s[10:11]
	s_wait_xcnt 0x0
	global_store_b64 v0, v[2:3], s[6:7] scope:SCOPE_SYS
.LBB0_2616:                             ;   Parent Loop BB0_2003 Depth=1
                                        ; =>  This Inner Loop Header: Depth=2
	global_load_b64 v[2:3], v0, s[4:5] scope:SCOPE_SYS
	s_wait_loadcnt 0x0
	v_cmp_ne_u64_e32 vcc_lo, s[10:11], v[2:3]
	s_cbranch_vccnz .LBB0_2616
; %bb.2617:                             ;   in Loop: Header=BB0_2003 Depth=1
	s_add_co_i32 s10, s8, 0x133
	s_mov_b32 s11, s9
	s_delay_alu instid0(SALU_CYCLE_1)
	v_mov_b64_e32 v[2:3], s[10:11]
	s_wait_xcnt 0x0
	global_store_b64 v0, v[2:3], s[6:7] scope:SCOPE_SYS
.LBB0_2618:                             ;   Parent Loop BB0_2003 Depth=1
                                        ; =>  This Inner Loop Header: Depth=2
	global_load_b64 v[2:3], v0, s[4:5] scope:SCOPE_SYS
	s_wait_loadcnt 0x0
	v_cmp_ne_u64_e32 vcc_lo, s[10:11], v[2:3]
	s_cbranch_vccnz .LBB0_2618
; %bb.2619:                             ;   in Loop: Header=BB0_2003 Depth=1
	s_add_co_i32 s10, s8, 0x134
	s_mov_b32 s11, s9
	s_delay_alu instid0(SALU_CYCLE_1)
	v_mov_b64_e32 v[2:3], s[10:11]
	s_wait_xcnt 0x0
	global_store_b64 v0, v[2:3], s[6:7] scope:SCOPE_SYS
.LBB0_2620:                             ;   Parent Loop BB0_2003 Depth=1
                                        ; =>  This Inner Loop Header: Depth=2
	global_load_b64 v[2:3], v0, s[4:5] scope:SCOPE_SYS
	s_wait_loadcnt 0x0
	v_cmp_ne_u64_e32 vcc_lo, s[10:11], v[2:3]
	s_cbranch_vccnz .LBB0_2620
; %bb.2621:                             ;   in Loop: Header=BB0_2003 Depth=1
	s_add_co_i32 s10, s8, 0x135
	s_mov_b32 s11, s9
	s_delay_alu instid0(SALU_CYCLE_1)
	v_mov_b64_e32 v[2:3], s[10:11]
	s_wait_xcnt 0x0
	global_store_b64 v0, v[2:3], s[6:7] scope:SCOPE_SYS
.LBB0_2622:                             ;   Parent Loop BB0_2003 Depth=1
                                        ; =>  This Inner Loop Header: Depth=2
	global_load_b64 v[2:3], v0, s[4:5] scope:SCOPE_SYS
	s_wait_loadcnt 0x0
	v_cmp_ne_u64_e32 vcc_lo, s[10:11], v[2:3]
	s_cbranch_vccnz .LBB0_2622
; %bb.2623:                             ;   in Loop: Header=BB0_2003 Depth=1
	s_add_co_i32 s10, s8, 0x136
	s_mov_b32 s11, s9
	s_delay_alu instid0(SALU_CYCLE_1)
	v_mov_b64_e32 v[2:3], s[10:11]
	s_wait_xcnt 0x0
	global_store_b64 v0, v[2:3], s[6:7] scope:SCOPE_SYS
.LBB0_2624:                             ;   Parent Loop BB0_2003 Depth=1
                                        ; =>  This Inner Loop Header: Depth=2
	global_load_b64 v[2:3], v0, s[4:5] scope:SCOPE_SYS
	s_wait_loadcnt 0x0
	v_cmp_ne_u64_e32 vcc_lo, s[10:11], v[2:3]
	s_cbranch_vccnz .LBB0_2624
; %bb.2625:                             ;   in Loop: Header=BB0_2003 Depth=1
	s_add_co_i32 s10, s8, 0x137
	s_mov_b32 s11, s9
	s_delay_alu instid0(SALU_CYCLE_1)
	v_mov_b64_e32 v[2:3], s[10:11]
	s_wait_xcnt 0x0
	global_store_b64 v0, v[2:3], s[6:7] scope:SCOPE_SYS
.LBB0_2626:                             ;   Parent Loop BB0_2003 Depth=1
                                        ; =>  This Inner Loop Header: Depth=2
	global_load_b64 v[2:3], v0, s[4:5] scope:SCOPE_SYS
	s_wait_loadcnt 0x0
	v_cmp_ne_u64_e32 vcc_lo, s[10:11], v[2:3]
	s_cbranch_vccnz .LBB0_2626
; %bb.2627:                             ;   in Loop: Header=BB0_2003 Depth=1
	s_add_co_i32 s10, s8, 0x138
	s_mov_b32 s11, s9
	s_delay_alu instid0(SALU_CYCLE_1)
	v_mov_b64_e32 v[2:3], s[10:11]
	s_wait_xcnt 0x0
	global_store_b64 v0, v[2:3], s[6:7] scope:SCOPE_SYS
.LBB0_2628:                             ;   Parent Loop BB0_2003 Depth=1
                                        ; =>  This Inner Loop Header: Depth=2
	global_load_b64 v[2:3], v0, s[4:5] scope:SCOPE_SYS
	s_wait_loadcnt 0x0
	v_cmp_ne_u64_e32 vcc_lo, s[10:11], v[2:3]
	s_cbranch_vccnz .LBB0_2628
; %bb.2629:                             ;   in Loop: Header=BB0_2003 Depth=1
	s_add_co_i32 s10, s8, 0x139
	s_mov_b32 s11, s9
	s_delay_alu instid0(SALU_CYCLE_1)
	v_mov_b64_e32 v[2:3], s[10:11]
	s_wait_xcnt 0x0
	global_store_b64 v0, v[2:3], s[6:7] scope:SCOPE_SYS
.LBB0_2630:                             ;   Parent Loop BB0_2003 Depth=1
                                        ; =>  This Inner Loop Header: Depth=2
	global_load_b64 v[2:3], v0, s[4:5] scope:SCOPE_SYS
	s_wait_loadcnt 0x0
	v_cmp_ne_u64_e32 vcc_lo, s[10:11], v[2:3]
	s_cbranch_vccnz .LBB0_2630
; %bb.2631:                             ;   in Loop: Header=BB0_2003 Depth=1
	s_add_co_i32 s10, s8, 0x13a
	s_mov_b32 s11, s9
	s_delay_alu instid0(SALU_CYCLE_1)
	v_mov_b64_e32 v[2:3], s[10:11]
	s_wait_xcnt 0x0
	global_store_b64 v0, v[2:3], s[6:7] scope:SCOPE_SYS
.LBB0_2632:                             ;   Parent Loop BB0_2003 Depth=1
                                        ; =>  This Inner Loop Header: Depth=2
	global_load_b64 v[2:3], v0, s[4:5] scope:SCOPE_SYS
	s_wait_loadcnt 0x0
	v_cmp_ne_u64_e32 vcc_lo, s[10:11], v[2:3]
	s_cbranch_vccnz .LBB0_2632
; %bb.2633:                             ;   in Loop: Header=BB0_2003 Depth=1
	s_add_co_i32 s10, s8, 0x13b
	s_mov_b32 s11, s9
	s_delay_alu instid0(SALU_CYCLE_1)
	v_mov_b64_e32 v[2:3], s[10:11]
	s_wait_xcnt 0x0
	global_store_b64 v0, v[2:3], s[6:7] scope:SCOPE_SYS
.LBB0_2634:                             ;   Parent Loop BB0_2003 Depth=1
                                        ; =>  This Inner Loop Header: Depth=2
	global_load_b64 v[2:3], v0, s[4:5] scope:SCOPE_SYS
	s_wait_loadcnt 0x0
	v_cmp_ne_u64_e32 vcc_lo, s[10:11], v[2:3]
	s_cbranch_vccnz .LBB0_2634
; %bb.2635:                             ;   in Loop: Header=BB0_2003 Depth=1
	s_add_co_i32 s10, s8, 0x13c
	s_mov_b32 s11, s9
	s_delay_alu instid0(SALU_CYCLE_1)
	v_mov_b64_e32 v[2:3], s[10:11]
	s_wait_xcnt 0x0
	global_store_b64 v0, v[2:3], s[6:7] scope:SCOPE_SYS
.LBB0_2636:                             ;   Parent Loop BB0_2003 Depth=1
                                        ; =>  This Inner Loop Header: Depth=2
	global_load_b64 v[2:3], v0, s[4:5] scope:SCOPE_SYS
	s_wait_loadcnt 0x0
	v_cmp_ne_u64_e32 vcc_lo, s[10:11], v[2:3]
	s_cbranch_vccnz .LBB0_2636
; %bb.2637:                             ;   in Loop: Header=BB0_2003 Depth=1
	s_add_co_i32 s10, s8, 0x13d
	s_mov_b32 s11, s9
	s_delay_alu instid0(SALU_CYCLE_1)
	v_mov_b64_e32 v[2:3], s[10:11]
	s_wait_xcnt 0x0
	global_store_b64 v0, v[2:3], s[6:7] scope:SCOPE_SYS
.LBB0_2638:                             ;   Parent Loop BB0_2003 Depth=1
                                        ; =>  This Inner Loop Header: Depth=2
	global_load_b64 v[2:3], v0, s[4:5] scope:SCOPE_SYS
	s_wait_loadcnt 0x0
	v_cmp_ne_u64_e32 vcc_lo, s[10:11], v[2:3]
	s_cbranch_vccnz .LBB0_2638
; %bb.2639:                             ;   in Loop: Header=BB0_2003 Depth=1
	s_add_co_i32 s10, s8, 0x13e
	s_mov_b32 s11, s9
	s_delay_alu instid0(SALU_CYCLE_1)
	v_mov_b64_e32 v[2:3], s[10:11]
	s_wait_xcnt 0x0
	global_store_b64 v0, v[2:3], s[6:7] scope:SCOPE_SYS
.LBB0_2640:                             ;   Parent Loop BB0_2003 Depth=1
                                        ; =>  This Inner Loop Header: Depth=2
	global_load_b64 v[2:3], v0, s[4:5] scope:SCOPE_SYS
	s_wait_loadcnt 0x0
	v_cmp_ne_u64_e32 vcc_lo, s[10:11], v[2:3]
	s_cbranch_vccnz .LBB0_2640
; %bb.2641:                             ;   in Loop: Header=BB0_2003 Depth=1
	s_add_co_i32 s10, s8, 0x13f
	s_mov_b32 s11, s9
	s_delay_alu instid0(SALU_CYCLE_1)
	v_mov_b64_e32 v[2:3], s[10:11]
	s_wait_xcnt 0x0
	global_store_b64 v0, v[2:3], s[6:7] scope:SCOPE_SYS
.LBB0_2642:                             ;   Parent Loop BB0_2003 Depth=1
                                        ; =>  This Inner Loop Header: Depth=2
	global_load_b64 v[2:3], v0, s[4:5] scope:SCOPE_SYS
	s_wait_loadcnt 0x0
	v_cmp_ne_u64_e32 vcc_lo, s[10:11], v[2:3]
	s_cbranch_vccnz .LBB0_2642
; %bb.2643:                             ;   in Loop: Header=BB0_2003 Depth=1
	s_add_co_i32 s10, s8, 0x140
	s_mov_b32 s11, s9
	s_delay_alu instid0(SALU_CYCLE_1)
	v_mov_b64_e32 v[2:3], s[10:11]
	s_wait_xcnt 0x0
	global_store_b64 v0, v[2:3], s[6:7] scope:SCOPE_SYS
.LBB0_2644:                             ;   Parent Loop BB0_2003 Depth=1
                                        ; =>  This Inner Loop Header: Depth=2
	global_load_b64 v[2:3], v0, s[4:5] scope:SCOPE_SYS
	s_wait_loadcnt 0x0
	v_cmp_ne_u64_e32 vcc_lo, s[10:11], v[2:3]
	s_cbranch_vccnz .LBB0_2644
; %bb.2645:                             ;   in Loop: Header=BB0_2003 Depth=1
	s_add_co_i32 s10, s8, 0x141
	s_mov_b32 s11, s9
	s_delay_alu instid0(SALU_CYCLE_1)
	v_mov_b64_e32 v[2:3], s[10:11]
	s_wait_xcnt 0x0
	global_store_b64 v0, v[2:3], s[6:7] scope:SCOPE_SYS
.LBB0_2646:                             ;   Parent Loop BB0_2003 Depth=1
                                        ; =>  This Inner Loop Header: Depth=2
	global_load_b64 v[2:3], v0, s[4:5] scope:SCOPE_SYS
	s_wait_loadcnt 0x0
	v_cmp_ne_u64_e32 vcc_lo, s[10:11], v[2:3]
	s_cbranch_vccnz .LBB0_2646
; %bb.2647:                             ;   in Loop: Header=BB0_2003 Depth=1
	s_add_co_i32 s10, s8, 0x142
	s_mov_b32 s11, s9
	s_delay_alu instid0(SALU_CYCLE_1)
	v_mov_b64_e32 v[2:3], s[10:11]
	s_wait_xcnt 0x0
	global_store_b64 v0, v[2:3], s[6:7] scope:SCOPE_SYS
.LBB0_2648:                             ;   Parent Loop BB0_2003 Depth=1
                                        ; =>  This Inner Loop Header: Depth=2
	global_load_b64 v[2:3], v0, s[4:5] scope:SCOPE_SYS
	s_wait_loadcnt 0x0
	v_cmp_ne_u64_e32 vcc_lo, s[10:11], v[2:3]
	s_cbranch_vccnz .LBB0_2648
; %bb.2649:                             ;   in Loop: Header=BB0_2003 Depth=1
	s_add_co_i32 s10, s8, 0x143
	s_mov_b32 s11, s9
	s_delay_alu instid0(SALU_CYCLE_1)
	v_mov_b64_e32 v[2:3], s[10:11]
	s_wait_xcnt 0x0
	global_store_b64 v0, v[2:3], s[6:7] scope:SCOPE_SYS
.LBB0_2650:                             ;   Parent Loop BB0_2003 Depth=1
                                        ; =>  This Inner Loop Header: Depth=2
	global_load_b64 v[2:3], v0, s[4:5] scope:SCOPE_SYS
	s_wait_loadcnt 0x0
	v_cmp_ne_u64_e32 vcc_lo, s[10:11], v[2:3]
	s_cbranch_vccnz .LBB0_2650
; %bb.2651:                             ;   in Loop: Header=BB0_2003 Depth=1
	s_add_co_i32 s10, s8, 0x144
	s_mov_b32 s11, s9
	s_delay_alu instid0(SALU_CYCLE_1)
	v_mov_b64_e32 v[2:3], s[10:11]
	s_wait_xcnt 0x0
	global_store_b64 v0, v[2:3], s[6:7] scope:SCOPE_SYS
.LBB0_2652:                             ;   Parent Loop BB0_2003 Depth=1
                                        ; =>  This Inner Loop Header: Depth=2
	global_load_b64 v[2:3], v0, s[4:5] scope:SCOPE_SYS
	s_wait_loadcnt 0x0
	v_cmp_ne_u64_e32 vcc_lo, s[10:11], v[2:3]
	s_cbranch_vccnz .LBB0_2652
; %bb.2653:                             ;   in Loop: Header=BB0_2003 Depth=1
	s_add_co_i32 s10, s8, 0x145
	s_mov_b32 s11, s9
	s_delay_alu instid0(SALU_CYCLE_1)
	v_mov_b64_e32 v[2:3], s[10:11]
	s_wait_xcnt 0x0
	global_store_b64 v0, v[2:3], s[6:7] scope:SCOPE_SYS
.LBB0_2654:                             ;   Parent Loop BB0_2003 Depth=1
                                        ; =>  This Inner Loop Header: Depth=2
	global_load_b64 v[2:3], v0, s[4:5] scope:SCOPE_SYS
	s_wait_loadcnt 0x0
	v_cmp_ne_u64_e32 vcc_lo, s[10:11], v[2:3]
	s_cbranch_vccnz .LBB0_2654
; %bb.2655:                             ;   in Loop: Header=BB0_2003 Depth=1
	s_add_co_i32 s10, s8, 0x146
	s_mov_b32 s11, s9
	s_delay_alu instid0(SALU_CYCLE_1)
	v_mov_b64_e32 v[2:3], s[10:11]
	s_wait_xcnt 0x0
	global_store_b64 v0, v[2:3], s[6:7] scope:SCOPE_SYS
.LBB0_2656:                             ;   Parent Loop BB0_2003 Depth=1
                                        ; =>  This Inner Loop Header: Depth=2
	global_load_b64 v[2:3], v0, s[4:5] scope:SCOPE_SYS
	s_wait_loadcnt 0x0
	v_cmp_ne_u64_e32 vcc_lo, s[10:11], v[2:3]
	s_cbranch_vccnz .LBB0_2656
; %bb.2657:                             ;   in Loop: Header=BB0_2003 Depth=1
	s_add_co_i32 s10, s8, 0x147
	s_mov_b32 s11, s9
	s_delay_alu instid0(SALU_CYCLE_1)
	v_mov_b64_e32 v[2:3], s[10:11]
	s_wait_xcnt 0x0
	global_store_b64 v0, v[2:3], s[6:7] scope:SCOPE_SYS
.LBB0_2658:                             ;   Parent Loop BB0_2003 Depth=1
                                        ; =>  This Inner Loop Header: Depth=2
	global_load_b64 v[2:3], v0, s[4:5] scope:SCOPE_SYS
	s_wait_loadcnt 0x0
	v_cmp_ne_u64_e32 vcc_lo, s[10:11], v[2:3]
	s_cbranch_vccnz .LBB0_2658
; %bb.2659:                             ;   in Loop: Header=BB0_2003 Depth=1
	s_add_co_i32 s10, s8, 0x148
	s_mov_b32 s11, s9
	s_delay_alu instid0(SALU_CYCLE_1)
	v_mov_b64_e32 v[2:3], s[10:11]
	s_wait_xcnt 0x0
	global_store_b64 v0, v[2:3], s[6:7] scope:SCOPE_SYS
.LBB0_2660:                             ;   Parent Loop BB0_2003 Depth=1
                                        ; =>  This Inner Loop Header: Depth=2
	global_load_b64 v[2:3], v0, s[4:5] scope:SCOPE_SYS
	s_wait_loadcnt 0x0
	v_cmp_ne_u64_e32 vcc_lo, s[10:11], v[2:3]
	s_cbranch_vccnz .LBB0_2660
; %bb.2661:                             ;   in Loop: Header=BB0_2003 Depth=1
	s_add_co_i32 s10, s8, 0x149
	s_mov_b32 s11, s9
	s_delay_alu instid0(SALU_CYCLE_1)
	v_mov_b64_e32 v[2:3], s[10:11]
	s_wait_xcnt 0x0
	global_store_b64 v0, v[2:3], s[6:7] scope:SCOPE_SYS
.LBB0_2662:                             ;   Parent Loop BB0_2003 Depth=1
                                        ; =>  This Inner Loop Header: Depth=2
	global_load_b64 v[2:3], v0, s[4:5] scope:SCOPE_SYS
	s_wait_loadcnt 0x0
	v_cmp_ne_u64_e32 vcc_lo, s[10:11], v[2:3]
	s_cbranch_vccnz .LBB0_2662
; %bb.2663:                             ;   in Loop: Header=BB0_2003 Depth=1
	s_add_co_i32 s10, s8, 0x14a
	s_mov_b32 s11, s9
	s_delay_alu instid0(SALU_CYCLE_1)
	v_mov_b64_e32 v[2:3], s[10:11]
	s_wait_xcnt 0x0
	global_store_b64 v0, v[2:3], s[6:7] scope:SCOPE_SYS
.LBB0_2664:                             ;   Parent Loop BB0_2003 Depth=1
                                        ; =>  This Inner Loop Header: Depth=2
	global_load_b64 v[2:3], v0, s[4:5] scope:SCOPE_SYS
	s_wait_loadcnt 0x0
	v_cmp_ne_u64_e32 vcc_lo, s[10:11], v[2:3]
	s_cbranch_vccnz .LBB0_2664
; %bb.2665:                             ;   in Loop: Header=BB0_2003 Depth=1
	s_add_co_i32 s10, s8, 0x14b
	s_mov_b32 s11, s9
	s_delay_alu instid0(SALU_CYCLE_1)
	v_mov_b64_e32 v[2:3], s[10:11]
	s_wait_xcnt 0x0
	global_store_b64 v0, v[2:3], s[6:7] scope:SCOPE_SYS
.LBB0_2666:                             ;   Parent Loop BB0_2003 Depth=1
                                        ; =>  This Inner Loop Header: Depth=2
	global_load_b64 v[2:3], v0, s[4:5] scope:SCOPE_SYS
	s_wait_loadcnt 0x0
	v_cmp_ne_u64_e32 vcc_lo, s[10:11], v[2:3]
	s_cbranch_vccnz .LBB0_2666
; %bb.2667:                             ;   in Loop: Header=BB0_2003 Depth=1
	s_add_co_i32 s10, s8, 0x14c
	s_mov_b32 s11, s9
	s_delay_alu instid0(SALU_CYCLE_1)
	v_mov_b64_e32 v[2:3], s[10:11]
	s_wait_xcnt 0x0
	global_store_b64 v0, v[2:3], s[6:7] scope:SCOPE_SYS
.LBB0_2668:                             ;   Parent Loop BB0_2003 Depth=1
                                        ; =>  This Inner Loop Header: Depth=2
	global_load_b64 v[2:3], v0, s[4:5] scope:SCOPE_SYS
	s_wait_loadcnt 0x0
	v_cmp_ne_u64_e32 vcc_lo, s[10:11], v[2:3]
	s_cbranch_vccnz .LBB0_2668
; %bb.2669:                             ;   in Loop: Header=BB0_2003 Depth=1
	s_add_co_i32 s10, s8, 0x14d
	s_mov_b32 s11, s9
	s_delay_alu instid0(SALU_CYCLE_1)
	v_mov_b64_e32 v[2:3], s[10:11]
	s_wait_xcnt 0x0
	global_store_b64 v0, v[2:3], s[6:7] scope:SCOPE_SYS
.LBB0_2670:                             ;   Parent Loop BB0_2003 Depth=1
                                        ; =>  This Inner Loop Header: Depth=2
	global_load_b64 v[2:3], v0, s[4:5] scope:SCOPE_SYS
	s_wait_loadcnt 0x0
	v_cmp_ne_u64_e32 vcc_lo, s[10:11], v[2:3]
	s_cbranch_vccnz .LBB0_2670
; %bb.2671:                             ;   in Loop: Header=BB0_2003 Depth=1
	s_add_co_i32 s10, s8, 0x14e
	s_mov_b32 s11, s9
	s_delay_alu instid0(SALU_CYCLE_1)
	v_mov_b64_e32 v[2:3], s[10:11]
	s_wait_xcnt 0x0
	global_store_b64 v0, v[2:3], s[6:7] scope:SCOPE_SYS
.LBB0_2672:                             ;   Parent Loop BB0_2003 Depth=1
                                        ; =>  This Inner Loop Header: Depth=2
	global_load_b64 v[2:3], v0, s[4:5] scope:SCOPE_SYS
	s_wait_loadcnt 0x0
	v_cmp_ne_u64_e32 vcc_lo, s[10:11], v[2:3]
	s_cbranch_vccnz .LBB0_2672
; %bb.2673:                             ;   in Loop: Header=BB0_2003 Depth=1
	s_add_co_i32 s10, s8, 0x14f
	s_mov_b32 s11, s9
	s_delay_alu instid0(SALU_CYCLE_1)
	v_mov_b64_e32 v[2:3], s[10:11]
	s_wait_xcnt 0x0
	global_store_b64 v0, v[2:3], s[6:7] scope:SCOPE_SYS
.LBB0_2674:                             ;   Parent Loop BB0_2003 Depth=1
                                        ; =>  This Inner Loop Header: Depth=2
	global_load_b64 v[2:3], v0, s[4:5] scope:SCOPE_SYS
	s_wait_loadcnt 0x0
	v_cmp_ne_u64_e32 vcc_lo, s[10:11], v[2:3]
	s_cbranch_vccnz .LBB0_2674
; %bb.2675:                             ;   in Loop: Header=BB0_2003 Depth=1
	s_add_co_i32 s10, s8, 0x150
	s_mov_b32 s11, s9
	s_delay_alu instid0(SALU_CYCLE_1)
	v_mov_b64_e32 v[2:3], s[10:11]
	s_wait_xcnt 0x0
	global_store_b64 v0, v[2:3], s[6:7] scope:SCOPE_SYS
.LBB0_2676:                             ;   Parent Loop BB0_2003 Depth=1
                                        ; =>  This Inner Loop Header: Depth=2
	global_load_b64 v[2:3], v0, s[4:5] scope:SCOPE_SYS
	s_wait_loadcnt 0x0
	v_cmp_ne_u64_e32 vcc_lo, s[10:11], v[2:3]
	s_cbranch_vccnz .LBB0_2676
; %bb.2677:                             ;   in Loop: Header=BB0_2003 Depth=1
	s_add_co_i32 s10, s8, 0x151
	s_mov_b32 s11, s9
	s_delay_alu instid0(SALU_CYCLE_1)
	v_mov_b64_e32 v[2:3], s[10:11]
	s_wait_xcnt 0x0
	global_store_b64 v0, v[2:3], s[6:7] scope:SCOPE_SYS
.LBB0_2678:                             ;   Parent Loop BB0_2003 Depth=1
                                        ; =>  This Inner Loop Header: Depth=2
	global_load_b64 v[2:3], v0, s[4:5] scope:SCOPE_SYS
	s_wait_loadcnt 0x0
	v_cmp_ne_u64_e32 vcc_lo, s[10:11], v[2:3]
	s_cbranch_vccnz .LBB0_2678
; %bb.2679:                             ;   in Loop: Header=BB0_2003 Depth=1
	s_add_co_i32 s10, s8, 0x152
	s_mov_b32 s11, s9
	s_delay_alu instid0(SALU_CYCLE_1)
	v_mov_b64_e32 v[2:3], s[10:11]
	s_wait_xcnt 0x0
	global_store_b64 v0, v[2:3], s[6:7] scope:SCOPE_SYS
.LBB0_2680:                             ;   Parent Loop BB0_2003 Depth=1
                                        ; =>  This Inner Loop Header: Depth=2
	global_load_b64 v[2:3], v0, s[4:5] scope:SCOPE_SYS
	s_wait_loadcnt 0x0
	v_cmp_ne_u64_e32 vcc_lo, s[10:11], v[2:3]
	s_cbranch_vccnz .LBB0_2680
; %bb.2681:                             ;   in Loop: Header=BB0_2003 Depth=1
	s_add_co_i32 s10, s8, 0x153
	s_mov_b32 s11, s9
	s_delay_alu instid0(SALU_CYCLE_1)
	v_mov_b64_e32 v[2:3], s[10:11]
	s_wait_xcnt 0x0
	global_store_b64 v0, v[2:3], s[6:7] scope:SCOPE_SYS
.LBB0_2682:                             ;   Parent Loop BB0_2003 Depth=1
                                        ; =>  This Inner Loop Header: Depth=2
	global_load_b64 v[2:3], v0, s[4:5] scope:SCOPE_SYS
	s_wait_loadcnt 0x0
	v_cmp_ne_u64_e32 vcc_lo, s[10:11], v[2:3]
	s_cbranch_vccnz .LBB0_2682
; %bb.2683:                             ;   in Loop: Header=BB0_2003 Depth=1
	s_add_co_i32 s10, s8, 0x154
	s_mov_b32 s11, s9
	s_delay_alu instid0(SALU_CYCLE_1)
	v_mov_b64_e32 v[2:3], s[10:11]
	s_wait_xcnt 0x0
	global_store_b64 v0, v[2:3], s[6:7] scope:SCOPE_SYS
.LBB0_2684:                             ;   Parent Loop BB0_2003 Depth=1
                                        ; =>  This Inner Loop Header: Depth=2
	global_load_b64 v[2:3], v0, s[4:5] scope:SCOPE_SYS
	s_wait_loadcnt 0x0
	v_cmp_ne_u64_e32 vcc_lo, s[10:11], v[2:3]
	s_cbranch_vccnz .LBB0_2684
; %bb.2685:                             ;   in Loop: Header=BB0_2003 Depth=1
	s_add_co_i32 s10, s8, 0x155
	s_mov_b32 s11, s9
	s_delay_alu instid0(SALU_CYCLE_1)
	v_mov_b64_e32 v[2:3], s[10:11]
	s_wait_xcnt 0x0
	global_store_b64 v0, v[2:3], s[6:7] scope:SCOPE_SYS
.LBB0_2686:                             ;   Parent Loop BB0_2003 Depth=1
                                        ; =>  This Inner Loop Header: Depth=2
	global_load_b64 v[2:3], v0, s[4:5] scope:SCOPE_SYS
	s_wait_loadcnt 0x0
	v_cmp_ne_u64_e32 vcc_lo, s[10:11], v[2:3]
	s_cbranch_vccnz .LBB0_2686
; %bb.2687:                             ;   in Loop: Header=BB0_2003 Depth=1
	s_add_co_i32 s10, s8, 0x156
	s_mov_b32 s11, s9
	s_delay_alu instid0(SALU_CYCLE_1)
	v_mov_b64_e32 v[2:3], s[10:11]
	s_wait_xcnt 0x0
	global_store_b64 v0, v[2:3], s[6:7] scope:SCOPE_SYS
.LBB0_2688:                             ;   Parent Loop BB0_2003 Depth=1
                                        ; =>  This Inner Loop Header: Depth=2
	global_load_b64 v[2:3], v0, s[4:5] scope:SCOPE_SYS
	s_wait_loadcnt 0x0
	v_cmp_ne_u64_e32 vcc_lo, s[10:11], v[2:3]
	s_cbranch_vccnz .LBB0_2688
; %bb.2689:                             ;   in Loop: Header=BB0_2003 Depth=1
	s_add_co_i32 s10, s8, 0x157
	s_mov_b32 s11, s9
	s_delay_alu instid0(SALU_CYCLE_1)
	v_mov_b64_e32 v[2:3], s[10:11]
	s_wait_xcnt 0x0
	global_store_b64 v0, v[2:3], s[6:7] scope:SCOPE_SYS
.LBB0_2690:                             ;   Parent Loop BB0_2003 Depth=1
                                        ; =>  This Inner Loop Header: Depth=2
	global_load_b64 v[2:3], v0, s[4:5] scope:SCOPE_SYS
	s_wait_loadcnt 0x0
	v_cmp_ne_u64_e32 vcc_lo, s[10:11], v[2:3]
	s_cbranch_vccnz .LBB0_2690
; %bb.2691:                             ;   in Loop: Header=BB0_2003 Depth=1
	s_add_co_i32 s10, s8, 0x158
	s_mov_b32 s11, s9
	s_delay_alu instid0(SALU_CYCLE_1)
	v_mov_b64_e32 v[2:3], s[10:11]
	s_wait_xcnt 0x0
	global_store_b64 v0, v[2:3], s[6:7] scope:SCOPE_SYS
.LBB0_2692:                             ;   Parent Loop BB0_2003 Depth=1
                                        ; =>  This Inner Loop Header: Depth=2
	global_load_b64 v[2:3], v0, s[4:5] scope:SCOPE_SYS
	s_wait_loadcnt 0x0
	v_cmp_ne_u64_e32 vcc_lo, s[10:11], v[2:3]
	s_cbranch_vccnz .LBB0_2692
; %bb.2693:                             ;   in Loop: Header=BB0_2003 Depth=1
	s_add_co_i32 s10, s8, 0x159
	s_mov_b32 s11, s9
	s_delay_alu instid0(SALU_CYCLE_1)
	v_mov_b64_e32 v[2:3], s[10:11]
	s_wait_xcnt 0x0
	global_store_b64 v0, v[2:3], s[6:7] scope:SCOPE_SYS
.LBB0_2694:                             ;   Parent Loop BB0_2003 Depth=1
                                        ; =>  This Inner Loop Header: Depth=2
	global_load_b64 v[2:3], v0, s[4:5] scope:SCOPE_SYS
	s_wait_loadcnt 0x0
	v_cmp_ne_u64_e32 vcc_lo, s[10:11], v[2:3]
	s_cbranch_vccnz .LBB0_2694
; %bb.2695:                             ;   in Loop: Header=BB0_2003 Depth=1
	s_add_co_i32 s10, s8, 0x15a
	s_mov_b32 s11, s9
	s_delay_alu instid0(SALU_CYCLE_1)
	v_mov_b64_e32 v[2:3], s[10:11]
	s_wait_xcnt 0x0
	global_store_b64 v0, v[2:3], s[6:7] scope:SCOPE_SYS
.LBB0_2696:                             ;   Parent Loop BB0_2003 Depth=1
                                        ; =>  This Inner Loop Header: Depth=2
	global_load_b64 v[2:3], v0, s[4:5] scope:SCOPE_SYS
	s_wait_loadcnt 0x0
	v_cmp_ne_u64_e32 vcc_lo, s[10:11], v[2:3]
	s_cbranch_vccnz .LBB0_2696
; %bb.2697:                             ;   in Loop: Header=BB0_2003 Depth=1
	s_add_co_i32 s10, s8, 0x15b
	s_mov_b32 s11, s9
	s_delay_alu instid0(SALU_CYCLE_1)
	v_mov_b64_e32 v[2:3], s[10:11]
	s_wait_xcnt 0x0
	global_store_b64 v0, v[2:3], s[6:7] scope:SCOPE_SYS
.LBB0_2698:                             ;   Parent Loop BB0_2003 Depth=1
                                        ; =>  This Inner Loop Header: Depth=2
	global_load_b64 v[2:3], v0, s[4:5] scope:SCOPE_SYS
	s_wait_loadcnt 0x0
	v_cmp_ne_u64_e32 vcc_lo, s[10:11], v[2:3]
	s_cbranch_vccnz .LBB0_2698
; %bb.2699:                             ;   in Loop: Header=BB0_2003 Depth=1
	s_add_co_i32 s10, s8, 0x15c
	s_mov_b32 s11, s9
	s_delay_alu instid0(SALU_CYCLE_1)
	v_mov_b64_e32 v[2:3], s[10:11]
	s_wait_xcnt 0x0
	global_store_b64 v0, v[2:3], s[6:7] scope:SCOPE_SYS
.LBB0_2700:                             ;   Parent Loop BB0_2003 Depth=1
                                        ; =>  This Inner Loop Header: Depth=2
	global_load_b64 v[2:3], v0, s[4:5] scope:SCOPE_SYS
	s_wait_loadcnt 0x0
	v_cmp_ne_u64_e32 vcc_lo, s[10:11], v[2:3]
	s_cbranch_vccnz .LBB0_2700
; %bb.2701:                             ;   in Loop: Header=BB0_2003 Depth=1
	s_add_co_i32 s10, s8, 0x15d
	s_mov_b32 s11, s9
	s_delay_alu instid0(SALU_CYCLE_1)
	v_mov_b64_e32 v[2:3], s[10:11]
	s_wait_xcnt 0x0
	global_store_b64 v0, v[2:3], s[6:7] scope:SCOPE_SYS
.LBB0_2702:                             ;   Parent Loop BB0_2003 Depth=1
                                        ; =>  This Inner Loop Header: Depth=2
	global_load_b64 v[2:3], v0, s[4:5] scope:SCOPE_SYS
	s_wait_loadcnt 0x0
	v_cmp_ne_u64_e32 vcc_lo, s[10:11], v[2:3]
	s_cbranch_vccnz .LBB0_2702
; %bb.2703:                             ;   in Loop: Header=BB0_2003 Depth=1
	s_add_co_i32 s10, s8, 0x15e
	s_mov_b32 s11, s9
	s_delay_alu instid0(SALU_CYCLE_1)
	v_mov_b64_e32 v[2:3], s[10:11]
	s_wait_xcnt 0x0
	global_store_b64 v0, v[2:3], s[6:7] scope:SCOPE_SYS
.LBB0_2704:                             ;   Parent Loop BB0_2003 Depth=1
                                        ; =>  This Inner Loop Header: Depth=2
	global_load_b64 v[2:3], v0, s[4:5] scope:SCOPE_SYS
	s_wait_loadcnt 0x0
	v_cmp_ne_u64_e32 vcc_lo, s[10:11], v[2:3]
	s_cbranch_vccnz .LBB0_2704
; %bb.2705:                             ;   in Loop: Header=BB0_2003 Depth=1
	s_add_co_i32 s10, s8, 0x15f
	s_mov_b32 s11, s9
	s_delay_alu instid0(SALU_CYCLE_1)
	v_mov_b64_e32 v[2:3], s[10:11]
	s_wait_xcnt 0x0
	global_store_b64 v0, v[2:3], s[6:7] scope:SCOPE_SYS
.LBB0_2706:                             ;   Parent Loop BB0_2003 Depth=1
                                        ; =>  This Inner Loop Header: Depth=2
	global_load_b64 v[2:3], v0, s[4:5] scope:SCOPE_SYS
	s_wait_loadcnt 0x0
	v_cmp_ne_u64_e32 vcc_lo, s[10:11], v[2:3]
	s_cbranch_vccnz .LBB0_2706
; %bb.2707:                             ;   in Loop: Header=BB0_2003 Depth=1
	s_add_co_i32 s10, s8, 0x160
	s_mov_b32 s11, s9
	s_delay_alu instid0(SALU_CYCLE_1)
	v_mov_b64_e32 v[2:3], s[10:11]
	s_wait_xcnt 0x0
	global_store_b64 v0, v[2:3], s[6:7] scope:SCOPE_SYS
.LBB0_2708:                             ;   Parent Loop BB0_2003 Depth=1
                                        ; =>  This Inner Loop Header: Depth=2
	global_load_b64 v[2:3], v0, s[4:5] scope:SCOPE_SYS
	s_wait_loadcnt 0x0
	v_cmp_ne_u64_e32 vcc_lo, s[10:11], v[2:3]
	s_cbranch_vccnz .LBB0_2708
; %bb.2709:                             ;   in Loop: Header=BB0_2003 Depth=1
	s_add_co_i32 s10, s8, 0x161
	s_mov_b32 s11, s9
	s_delay_alu instid0(SALU_CYCLE_1)
	v_mov_b64_e32 v[2:3], s[10:11]
	s_wait_xcnt 0x0
	global_store_b64 v0, v[2:3], s[6:7] scope:SCOPE_SYS
.LBB0_2710:                             ;   Parent Loop BB0_2003 Depth=1
                                        ; =>  This Inner Loop Header: Depth=2
	global_load_b64 v[2:3], v0, s[4:5] scope:SCOPE_SYS
	s_wait_loadcnt 0x0
	v_cmp_ne_u64_e32 vcc_lo, s[10:11], v[2:3]
	s_cbranch_vccnz .LBB0_2710
; %bb.2711:                             ;   in Loop: Header=BB0_2003 Depth=1
	s_add_co_i32 s10, s8, 0x162
	s_mov_b32 s11, s9
	s_delay_alu instid0(SALU_CYCLE_1)
	v_mov_b64_e32 v[2:3], s[10:11]
	s_wait_xcnt 0x0
	global_store_b64 v0, v[2:3], s[6:7] scope:SCOPE_SYS
.LBB0_2712:                             ;   Parent Loop BB0_2003 Depth=1
                                        ; =>  This Inner Loop Header: Depth=2
	global_load_b64 v[2:3], v0, s[4:5] scope:SCOPE_SYS
	s_wait_loadcnt 0x0
	v_cmp_ne_u64_e32 vcc_lo, s[10:11], v[2:3]
	s_cbranch_vccnz .LBB0_2712
; %bb.2713:                             ;   in Loop: Header=BB0_2003 Depth=1
	s_add_co_i32 s10, s8, 0x163
	s_mov_b32 s11, s9
	s_delay_alu instid0(SALU_CYCLE_1)
	v_mov_b64_e32 v[2:3], s[10:11]
	s_wait_xcnt 0x0
	global_store_b64 v0, v[2:3], s[6:7] scope:SCOPE_SYS
.LBB0_2714:                             ;   Parent Loop BB0_2003 Depth=1
                                        ; =>  This Inner Loop Header: Depth=2
	global_load_b64 v[2:3], v0, s[4:5] scope:SCOPE_SYS
	s_wait_loadcnt 0x0
	v_cmp_ne_u64_e32 vcc_lo, s[10:11], v[2:3]
	s_cbranch_vccnz .LBB0_2714
; %bb.2715:                             ;   in Loop: Header=BB0_2003 Depth=1
	s_add_co_i32 s10, s8, 0x164
	s_mov_b32 s11, s9
	s_delay_alu instid0(SALU_CYCLE_1)
	v_mov_b64_e32 v[2:3], s[10:11]
	s_wait_xcnt 0x0
	global_store_b64 v0, v[2:3], s[6:7] scope:SCOPE_SYS
.LBB0_2716:                             ;   Parent Loop BB0_2003 Depth=1
                                        ; =>  This Inner Loop Header: Depth=2
	global_load_b64 v[2:3], v0, s[4:5] scope:SCOPE_SYS
	s_wait_loadcnt 0x0
	v_cmp_ne_u64_e32 vcc_lo, s[10:11], v[2:3]
	s_cbranch_vccnz .LBB0_2716
; %bb.2717:                             ;   in Loop: Header=BB0_2003 Depth=1
	s_add_co_i32 s10, s8, 0x165
	s_mov_b32 s11, s9
	s_delay_alu instid0(SALU_CYCLE_1)
	v_mov_b64_e32 v[2:3], s[10:11]
	s_wait_xcnt 0x0
	global_store_b64 v0, v[2:3], s[6:7] scope:SCOPE_SYS
.LBB0_2718:                             ;   Parent Loop BB0_2003 Depth=1
                                        ; =>  This Inner Loop Header: Depth=2
	global_load_b64 v[2:3], v0, s[4:5] scope:SCOPE_SYS
	s_wait_loadcnt 0x0
	v_cmp_ne_u64_e32 vcc_lo, s[10:11], v[2:3]
	s_cbranch_vccnz .LBB0_2718
; %bb.2719:                             ;   in Loop: Header=BB0_2003 Depth=1
	s_add_co_i32 s10, s8, 0x166
	s_mov_b32 s11, s9
	s_delay_alu instid0(SALU_CYCLE_1)
	v_mov_b64_e32 v[2:3], s[10:11]
	s_wait_xcnt 0x0
	global_store_b64 v0, v[2:3], s[6:7] scope:SCOPE_SYS
.LBB0_2720:                             ;   Parent Loop BB0_2003 Depth=1
                                        ; =>  This Inner Loop Header: Depth=2
	global_load_b64 v[2:3], v0, s[4:5] scope:SCOPE_SYS
	s_wait_loadcnt 0x0
	v_cmp_ne_u64_e32 vcc_lo, s[10:11], v[2:3]
	s_cbranch_vccnz .LBB0_2720
; %bb.2721:                             ;   in Loop: Header=BB0_2003 Depth=1
	s_add_co_i32 s10, s8, 0x167
	s_mov_b32 s11, s9
	s_delay_alu instid0(SALU_CYCLE_1)
	v_mov_b64_e32 v[2:3], s[10:11]
	s_wait_xcnt 0x0
	global_store_b64 v0, v[2:3], s[6:7] scope:SCOPE_SYS
.LBB0_2722:                             ;   Parent Loop BB0_2003 Depth=1
                                        ; =>  This Inner Loop Header: Depth=2
	global_load_b64 v[2:3], v0, s[4:5] scope:SCOPE_SYS
	s_wait_loadcnt 0x0
	v_cmp_ne_u64_e32 vcc_lo, s[10:11], v[2:3]
	s_cbranch_vccnz .LBB0_2722
; %bb.2723:                             ;   in Loop: Header=BB0_2003 Depth=1
	s_add_co_i32 s10, s8, 0x168
	s_mov_b32 s11, s9
	s_delay_alu instid0(SALU_CYCLE_1)
	v_mov_b64_e32 v[2:3], s[10:11]
	s_wait_xcnt 0x0
	global_store_b64 v0, v[2:3], s[6:7] scope:SCOPE_SYS
.LBB0_2724:                             ;   Parent Loop BB0_2003 Depth=1
                                        ; =>  This Inner Loop Header: Depth=2
	global_load_b64 v[2:3], v0, s[4:5] scope:SCOPE_SYS
	s_wait_loadcnt 0x0
	v_cmp_ne_u64_e32 vcc_lo, s[10:11], v[2:3]
	s_cbranch_vccnz .LBB0_2724
; %bb.2725:                             ;   in Loop: Header=BB0_2003 Depth=1
	s_add_co_i32 s10, s8, 0x169
	s_mov_b32 s11, s9
	s_delay_alu instid0(SALU_CYCLE_1)
	v_mov_b64_e32 v[2:3], s[10:11]
	s_wait_xcnt 0x0
	global_store_b64 v0, v[2:3], s[6:7] scope:SCOPE_SYS
.LBB0_2726:                             ;   Parent Loop BB0_2003 Depth=1
                                        ; =>  This Inner Loop Header: Depth=2
	global_load_b64 v[2:3], v0, s[4:5] scope:SCOPE_SYS
	s_wait_loadcnt 0x0
	v_cmp_ne_u64_e32 vcc_lo, s[10:11], v[2:3]
	s_cbranch_vccnz .LBB0_2726
; %bb.2727:                             ;   in Loop: Header=BB0_2003 Depth=1
	s_add_co_i32 s10, s8, 0x16a
	s_mov_b32 s11, s9
	s_delay_alu instid0(SALU_CYCLE_1)
	v_mov_b64_e32 v[2:3], s[10:11]
	s_wait_xcnt 0x0
	global_store_b64 v0, v[2:3], s[6:7] scope:SCOPE_SYS
.LBB0_2728:                             ;   Parent Loop BB0_2003 Depth=1
                                        ; =>  This Inner Loop Header: Depth=2
	global_load_b64 v[2:3], v0, s[4:5] scope:SCOPE_SYS
	s_wait_loadcnt 0x0
	v_cmp_ne_u64_e32 vcc_lo, s[10:11], v[2:3]
	s_cbranch_vccnz .LBB0_2728
; %bb.2729:                             ;   in Loop: Header=BB0_2003 Depth=1
	s_add_co_i32 s10, s8, 0x16b
	s_mov_b32 s11, s9
	s_delay_alu instid0(SALU_CYCLE_1)
	v_mov_b64_e32 v[2:3], s[10:11]
	s_wait_xcnt 0x0
	global_store_b64 v0, v[2:3], s[6:7] scope:SCOPE_SYS
.LBB0_2730:                             ;   Parent Loop BB0_2003 Depth=1
                                        ; =>  This Inner Loop Header: Depth=2
	global_load_b64 v[2:3], v0, s[4:5] scope:SCOPE_SYS
	s_wait_loadcnt 0x0
	v_cmp_ne_u64_e32 vcc_lo, s[10:11], v[2:3]
	s_cbranch_vccnz .LBB0_2730
; %bb.2731:                             ;   in Loop: Header=BB0_2003 Depth=1
	s_add_co_i32 s10, s8, 0x16c
	s_mov_b32 s11, s9
	s_delay_alu instid0(SALU_CYCLE_1)
	v_mov_b64_e32 v[2:3], s[10:11]
	s_wait_xcnt 0x0
	global_store_b64 v0, v[2:3], s[6:7] scope:SCOPE_SYS
.LBB0_2732:                             ;   Parent Loop BB0_2003 Depth=1
                                        ; =>  This Inner Loop Header: Depth=2
	global_load_b64 v[2:3], v0, s[4:5] scope:SCOPE_SYS
	s_wait_loadcnt 0x0
	v_cmp_ne_u64_e32 vcc_lo, s[10:11], v[2:3]
	s_cbranch_vccnz .LBB0_2732
; %bb.2733:                             ;   in Loop: Header=BB0_2003 Depth=1
	s_add_co_i32 s10, s8, 0x16d
	s_mov_b32 s11, s9
	s_delay_alu instid0(SALU_CYCLE_1)
	v_mov_b64_e32 v[2:3], s[10:11]
	s_wait_xcnt 0x0
	global_store_b64 v0, v[2:3], s[6:7] scope:SCOPE_SYS
.LBB0_2734:                             ;   Parent Loop BB0_2003 Depth=1
                                        ; =>  This Inner Loop Header: Depth=2
	global_load_b64 v[2:3], v0, s[4:5] scope:SCOPE_SYS
	s_wait_loadcnt 0x0
	v_cmp_ne_u64_e32 vcc_lo, s[10:11], v[2:3]
	s_cbranch_vccnz .LBB0_2734
; %bb.2735:                             ;   in Loop: Header=BB0_2003 Depth=1
	s_add_co_i32 s10, s8, 0x16e
	s_mov_b32 s11, s9
	s_delay_alu instid0(SALU_CYCLE_1)
	v_mov_b64_e32 v[2:3], s[10:11]
	s_wait_xcnt 0x0
	global_store_b64 v0, v[2:3], s[6:7] scope:SCOPE_SYS
.LBB0_2736:                             ;   Parent Loop BB0_2003 Depth=1
                                        ; =>  This Inner Loop Header: Depth=2
	global_load_b64 v[2:3], v0, s[4:5] scope:SCOPE_SYS
	s_wait_loadcnt 0x0
	v_cmp_ne_u64_e32 vcc_lo, s[10:11], v[2:3]
	s_cbranch_vccnz .LBB0_2736
; %bb.2737:                             ;   in Loop: Header=BB0_2003 Depth=1
	s_add_co_i32 s10, s8, 0x16f
	s_mov_b32 s11, s9
	s_delay_alu instid0(SALU_CYCLE_1)
	v_mov_b64_e32 v[2:3], s[10:11]
	s_wait_xcnt 0x0
	global_store_b64 v0, v[2:3], s[6:7] scope:SCOPE_SYS
.LBB0_2738:                             ;   Parent Loop BB0_2003 Depth=1
                                        ; =>  This Inner Loop Header: Depth=2
	global_load_b64 v[2:3], v0, s[4:5] scope:SCOPE_SYS
	s_wait_loadcnt 0x0
	v_cmp_ne_u64_e32 vcc_lo, s[10:11], v[2:3]
	s_cbranch_vccnz .LBB0_2738
; %bb.2739:                             ;   in Loop: Header=BB0_2003 Depth=1
	s_add_co_i32 s10, s8, 0x170
	s_mov_b32 s11, s9
	s_delay_alu instid0(SALU_CYCLE_1)
	v_mov_b64_e32 v[2:3], s[10:11]
	s_wait_xcnt 0x0
	global_store_b64 v0, v[2:3], s[6:7] scope:SCOPE_SYS
.LBB0_2740:                             ;   Parent Loop BB0_2003 Depth=1
                                        ; =>  This Inner Loop Header: Depth=2
	global_load_b64 v[2:3], v0, s[4:5] scope:SCOPE_SYS
	s_wait_loadcnt 0x0
	v_cmp_ne_u64_e32 vcc_lo, s[10:11], v[2:3]
	s_cbranch_vccnz .LBB0_2740
; %bb.2741:                             ;   in Loop: Header=BB0_2003 Depth=1
	s_add_co_i32 s10, s8, 0x171
	s_mov_b32 s11, s9
	s_delay_alu instid0(SALU_CYCLE_1)
	v_mov_b64_e32 v[2:3], s[10:11]
	s_wait_xcnt 0x0
	global_store_b64 v0, v[2:3], s[6:7] scope:SCOPE_SYS
.LBB0_2742:                             ;   Parent Loop BB0_2003 Depth=1
                                        ; =>  This Inner Loop Header: Depth=2
	global_load_b64 v[2:3], v0, s[4:5] scope:SCOPE_SYS
	s_wait_loadcnt 0x0
	v_cmp_ne_u64_e32 vcc_lo, s[10:11], v[2:3]
	s_cbranch_vccnz .LBB0_2742
; %bb.2743:                             ;   in Loop: Header=BB0_2003 Depth=1
	s_add_co_i32 s10, s8, 0x172
	s_mov_b32 s11, s9
	s_delay_alu instid0(SALU_CYCLE_1)
	v_mov_b64_e32 v[2:3], s[10:11]
	s_wait_xcnt 0x0
	global_store_b64 v0, v[2:3], s[6:7] scope:SCOPE_SYS
.LBB0_2744:                             ;   Parent Loop BB0_2003 Depth=1
                                        ; =>  This Inner Loop Header: Depth=2
	global_load_b64 v[2:3], v0, s[4:5] scope:SCOPE_SYS
	s_wait_loadcnt 0x0
	v_cmp_ne_u64_e32 vcc_lo, s[10:11], v[2:3]
	s_cbranch_vccnz .LBB0_2744
; %bb.2745:                             ;   in Loop: Header=BB0_2003 Depth=1
	s_add_co_i32 s10, s8, 0x173
	s_mov_b32 s11, s9
	s_delay_alu instid0(SALU_CYCLE_1)
	v_mov_b64_e32 v[2:3], s[10:11]
	s_wait_xcnt 0x0
	global_store_b64 v0, v[2:3], s[6:7] scope:SCOPE_SYS
.LBB0_2746:                             ;   Parent Loop BB0_2003 Depth=1
                                        ; =>  This Inner Loop Header: Depth=2
	global_load_b64 v[2:3], v0, s[4:5] scope:SCOPE_SYS
	s_wait_loadcnt 0x0
	v_cmp_ne_u64_e32 vcc_lo, s[10:11], v[2:3]
	s_cbranch_vccnz .LBB0_2746
; %bb.2747:                             ;   in Loop: Header=BB0_2003 Depth=1
	s_add_co_i32 s10, s8, 0x174
	s_mov_b32 s11, s9
	s_delay_alu instid0(SALU_CYCLE_1)
	v_mov_b64_e32 v[2:3], s[10:11]
	s_wait_xcnt 0x0
	global_store_b64 v0, v[2:3], s[6:7] scope:SCOPE_SYS
.LBB0_2748:                             ;   Parent Loop BB0_2003 Depth=1
                                        ; =>  This Inner Loop Header: Depth=2
	global_load_b64 v[2:3], v0, s[4:5] scope:SCOPE_SYS
	s_wait_loadcnt 0x0
	v_cmp_ne_u64_e32 vcc_lo, s[10:11], v[2:3]
	s_cbranch_vccnz .LBB0_2748
; %bb.2749:                             ;   in Loop: Header=BB0_2003 Depth=1
	s_add_co_i32 s10, s8, 0x175
	s_mov_b32 s11, s9
	s_delay_alu instid0(SALU_CYCLE_1)
	v_mov_b64_e32 v[2:3], s[10:11]
	s_wait_xcnt 0x0
	global_store_b64 v0, v[2:3], s[6:7] scope:SCOPE_SYS
.LBB0_2750:                             ;   Parent Loop BB0_2003 Depth=1
                                        ; =>  This Inner Loop Header: Depth=2
	global_load_b64 v[2:3], v0, s[4:5] scope:SCOPE_SYS
	s_wait_loadcnt 0x0
	v_cmp_ne_u64_e32 vcc_lo, s[10:11], v[2:3]
	s_cbranch_vccnz .LBB0_2750
; %bb.2751:                             ;   in Loop: Header=BB0_2003 Depth=1
	s_add_co_i32 s10, s8, 0x176
	s_mov_b32 s11, s9
	s_delay_alu instid0(SALU_CYCLE_1)
	v_mov_b64_e32 v[2:3], s[10:11]
	s_wait_xcnt 0x0
	global_store_b64 v0, v[2:3], s[6:7] scope:SCOPE_SYS
.LBB0_2752:                             ;   Parent Loop BB0_2003 Depth=1
                                        ; =>  This Inner Loop Header: Depth=2
	global_load_b64 v[2:3], v0, s[4:5] scope:SCOPE_SYS
	s_wait_loadcnt 0x0
	v_cmp_ne_u64_e32 vcc_lo, s[10:11], v[2:3]
	s_cbranch_vccnz .LBB0_2752
; %bb.2753:                             ;   in Loop: Header=BB0_2003 Depth=1
	s_add_co_i32 s10, s8, 0x177
	s_mov_b32 s11, s9
	s_delay_alu instid0(SALU_CYCLE_1)
	v_mov_b64_e32 v[2:3], s[10:11]
	s_wait_xcnt 0x0
	global_store_b64 v0, v[2:3], s[6:7] scope:SCOPE_SYS
.LBB0_2754:                             ;   Parent Loop BB0_2003 Depth=1
                                        ; =>  This Inner Loop Header: Depth=2
	global_load_b64 v[2:3], v0, s[4:5] scope:SCOPE_SYS
	s_wait_loadcnt 0x0
	v_cmp_ne_u64_e32 vcc_lo, s[10:11], v[2:3]
	s_cbranch_vccnz .LBB0_2754
; %bb.2755:                             ;   in Loop: Header=BB0_2003 Depth=1
	s_add_co_i32 s10, s8, 0x178
	s_mov_b32 s11, s9
	s_delay_alu instid0(SALU_CYCLE_1)
	v_mov_b64_e32 v[2:3], s[10:11]
	s_wait_xcnt 0x0
	global_store_b64 v0, v[2:3], s[6:7] scope:SCOPE_SYS
.LBB0_2756:                             ;   Parent Loop BB0_2003 Depth=1
                                        ; =>  This Inner Loop Header: Depth=2
	global_load_b64 v[2:3], v0, s[4:5] scope:SCOPE_SYS
	s_wait_loadcnt 0x0
	v_cmp_ne_u64_e32 vcc_lo, s[10:11], v[2:3]
	s_cbranch_vccnz .LBB0_2756
; %bb.2757:                             ;   in Loop: Header=BB0_2003 Depth=1
	s_add_co_i32 s10, s8, 0x179
	s_mov_b32 s11, s9
	s_delay_alu instid0(SALU_CYCLE_1)
	v_mov_b64_e32 v[2:3], s[10:11]
	s_wait_xcnt 0x0
	global_store_b64 v0, v[2:3], s[6:7] scope:SCOPE_SYS
.LBB0_2758:                             ;   Parent Loop BB0_2003 Depth=1
                                        ; =>  This Inner Loop Header: Depth=2
	global_load_b64 v[2:3], v0, s[4:5] scope:SCOPE_SYS
	s_wait_loadcnt 0x0
	v_cmp_ne_u64_e32 vcc_lo, s[10:11], v[2:3]
	s_cbranch_vccnz .LBB0_2758
; %bb.2759:                             ;   in Loop: Header=BB0_2003 Depth=1
	s_add_co_i32 s10, s8, 0x17a
	s_mov_b32 s11, s9
	s_delay_alu instid0(SALU_CYCLE_1)
	v_mov_b64_e32 v[2:3], s[10:11]
	s_wait_xcnt 0x0
	global_store_b64 v0, v[2:3], s[6:7] scope:SCOPE_SYS
.LBB0_2760:                             ;   Parent Loop BB0_2003 Depth=1
                                        ; =>  This Inner Loop Header: Depth=2
	global_load_b64 v[2:3], v0, s[4:5] scope:SCOPE_SYS
	s_wait_loadcnt 0x0
	v_cmp_ne_u64_e32 vcc_lo, s[10:11], v[2:3]
	s_cbranch_vccnz .LBB0_2760
; %bb.2761:                             ;   in Loop: Header=BB0_2003 Depth=1
	s_add_co_i32 s10, s8, 0x17b
	s_mov_b32 s11, s9
	s_delay_alu instid0(SALU_CYCLE_1)
	v_mov_b64_e32 v[2:3], s[10:11]
	s_wait_xcnt 0x0
	global_store_b64 v0, v[2:3], s[6:7] scope:SCOPE_SYS
.LBB0_2762:                             ;   Parent Loop BB0_2003 Depth=1
                                        ; =>  This Inner Loop Header: Depth=2
	global_load_b64 v[2:3], v0, s[4:5] scope:SCOPE_SYS
	s_wait_loadcnt 0x0
	v_cmp_ne_u64_e32 vcc_lo, s[10:11], v[2:3]
	s_cbranch_vccnz .LBB0_2762
; %bb.2763:                             ;   in Loop: Header=BB0_2003 Depth=1
	s_add_co_i32 s10, s8, 0x17c
	s_mov_b32 s11, s9
	s_delay_alu instid0(SALU_CYCLE_1)
	v_mov_b64_e32 v[2:3], s[10:11]
	s_wait_xcnt 0x0
	global_store_b64 v0, v[2:3], s[6:7] scope:SCOPE_SYS
.LBB0_2764:                             ;   Parent Loop BB0_2003 Depth=1
                                        ; =>  This Inner Loop Header: Depth=2
	global_load_b64 v[2:3], v0, s[4:5] scope:SCOPE_SYS
	s_wait_loadcnt 0x0
	v_cmp_ne_u64_e32 vcc_lo, s[10:11], v[2:3]
	s_cbranch_vccnz .LBB0_2764
; %bb.2765:                             ;   in Loop: Header=BB0_2003 Depth=1
	s_add_co_i32 s10, s8, 0x17d
	s_mov_b32 s11, s9
	s_delay_alu instid0(SALU_CYCLE_1)
	v_mov_b64_e32 v[2:3], s[10:11]
	s_wait_xcnt 0x0
	global_store_b64 v0, v[2:3], s[6:7] scope:SCOPE_SYS
.LBB0_2766:                             ;   Parent Loop BB0_2003 Depth=1
                                        ; =>  This Inner Loop Header: Depth=2
	global_load_b64 v[2:3], v0, s[4:5] scope:SCOPE_SYS
	s_wait_loadcnt 0x0
	v_cmp_ne_u64_e32 vcc_lo, s[10:11], v[2:3]
	s_cbranch_vccnz .LBB0_2766
; %bb.2767:                             ;   in Loop: Header=BB0_2003 Depth=1
	s_add_co_i32 s10, s8, 0x17e
	s_mov_b32 s11, s9
	s_delay_alu instid0(SALU_CYCLE_1)
	v_mov_b64_e32 v[2:3], s[10:11]
	s_wait_xcnt 0x0
	global_store_b64 v0, v[2:3], s[6:7] scope:SCOPE_SYS
.LBB0_2768:                             ;   Parent Loop BB0_2003 Depth=1
                                        ; =>  This Inner Loop Header: Depth=2
	global_load_b64 v[2:3], v0, s[4:5] scope:SCOPE_SYS
	s_wait_loadcnt 0x0
	v_cmp_ne_u64_e32 vcc_lo, s[10:11], v[2:3]
	s_cbranch_vccnz .LBB0_2768
; %bb.2769:                             ;   in Loop: Header=BB0_2003 Depth=1
	s_add_co_i32 s10, s8, 0x17f
	s_mov_b32 s11, s9
	s_delay_alu instid0(SALU_CYCLE_1)
	v_mov_b64_e32 v[2:3], s[10:11]
	s_wait_xcnt 0x0
	global_store_b64 v0, v[2:3], s[6:7] scope:SCOPE_SYS
.LBB0_2770:                             ;   Parent Loop BB0_2003 Depth=1
                                        ; =>  This Inner Loop Header: Depth=2
	global_load_b64 v[2:3], v0, s[4:5] scope:SCOPE_SYS
	s_wait_loadcnt 0x0
	v_cmp_ne_u64_e32 vcc_lo, s[10:11], v[2:3]
	s_cbranch_vccnz .LBB0_2770
; %bb.2771:                             ;   in Loop: Header=BB0_2003 Depth=1
	s_add_co_i32 s10, s8, 0x180
	s_mov_b32 s11, s9
	s_delay_alu instid0(SALU_CYCLE_1)
	v_mov_b64_e32 v[2:3], s[10:11]
	s_wait_xcnt 0x0
	global_store_b64 v0, v[2:3], s[6:7] scope:SCOPE_SYS
.LBB0_2772:                             ;   Parent Loop BB0_2003 Depth=1
                                        ; =>  This Inner Loop Header: Depth=2
	global_load_b64 v[2:3], v0, s[4:5] scope:SCOPE_SYS
	s_wait_loadcnt 0x0
	v_cmp_ne_u64_e32 vcc_lo, s[10:11], v[2:3]
	s_cbranch_vccnz .LBB0_2772
; %bb.2773:                             ;   in Loop: Header=BB0_2003 Depth=1
	s_add_co_i32 s10, s8, 0x181
	s_mov_b32 s11, s9
	s_delay_alu instid0(SALU_CYCLE_1)
	v_mov_b64_e32 v[2:3], s[10:11]
	s_wait_xcnt 0x0
	global_store_b64 v0, v[2:3], s[6:7] scope:SCOPE_SYS
.LBB0_2774:                             ;   Parent Loop BB0_2003 Depth=1
                                        ; =>  This Inner Loop Header: Depth=2
	global_load_b64 v[2:3], v0, s[4:5] scope:SCOPE_SYS
	s_wait_loadcnt 0x0
	v_cmp_ne_u64_e32 vcc_lo, s[10:11], v[2:3]
	s_cbranch_vccnz .LBB0_2774
; %bb.2775:                             ;   in Loop: Header=BB0_2003 Depth=1
	s_add_co_i32 s10, s8, 0x182
	s_mov_b32 s11, s9
	s_delay_alu instid0(SALU_CYCLE_1)
	v_mov_b64_e32 v[2:3], s[10:11]
	s_wait_xcnt 0x0
	global_store_b64 v0, v[2:3], s[6:7] scope:SCOPE_SYS
.LBB0_2776:                             ;   Parent Loop BB0_2003 Depth=1
                                        ; =>  This Inner Loop Header: Depth=2
	global_load_b64 v[2:3], v0, s[4:5] scope:SCOPE_SYS
	s_wait_loadcnt 0x0
	v_cmp_ne_u64_e32 vcc_lo, s[10:11], v[2:3]
	s_cbranch_vccnz .LBB0_2776
; %bb.2777:                             ;   in Loop: Header=BB0_2003 Depth=1
	s_add_co_i32 s10, s8, 0x183
	s_mov_b32 s11, s9
	s_delay_alu instid0(SALU_CYCLE_1)
	v_mov_b64_e32 v[2:3], s[10:11]
	s_wait_xcnt 0x0
	global_store_b64 v0, v[2:3], s[6:7] scope:SCOPE_SYS
.LBB0_2778:                             ;   Parent Loop BB0_2003 Depth=1
                                        ; =>  This Inner Loop Header: Depth=2
	global_load_b64 v[2:3], v0, s[4:5] scope:SCOPE_SYS
	s_wait_loadcnt 0x0
	v_cmp_ne_u64_e32 vcc_lo, s[10:11], v[2:3]
	s_cbranch_vccnz .LBB0_2778
; %bb.2779:                             ;   in Loop: Header=BB0_2003 Depth=1
	s_add_co_i32 s10, s8, 0x184
	s_mov_b32 s11, s9
	s_delay_alu instid0(SALU_CYCLE_1)
	v_mov_b64_e32 v[2:3], s[10:11]
	s_wait_xcnt 0x0
	global_store_b64 v0, v[2:3], s[6:7] scope:SCOPE_SYS
.LBB0_2780:                             ;   Parent Loop BB0_2003 Depth=1
                                        ; =>  This Inner Loop Header: Depth=2
	global_load_b64 v[2:3], v0, s[4:5] scope:SCOPE_SYS
	s_wait_loadcnt 0x0
	v_cmp_ne_u64_e32 vcc_lo, s[10:11], v[2:3]
	s_cbranch_vccnz .LBB0_2780
; %bb.2781:                             ;   in Loop: Header=BB0_2003 Depth=1
	s_add_co_i32 s10, s8, 0x185
	s_mov_b32 s11, s9
	s_delay_alu instid0(SALU_CYCLE_1)
	v_mov_b64_e32 v[2:3], s[10:11]
	s_wait_xcnt 0x0
	global_store_b64 v0, v[2:3], s[6:7] scope:SCOPE_SYS
.LBB0_2782:                             ;   Parent Loop BB0_2003 Depth=1
                                        ; =>  This Inner Loop Header: Depth=2
	global_load_b64 v[2:3], v0, s[4:5] scope:SCOPE_SYS
	s_wait_loadcnt 0x0
	v_cmp_ne_u64_e32 vcc_lo, s[10:11], v[2:3]
	s_cbranch_vccnz .LBB0_2782
; %bb.2783:                             ;   in Loop: Header=BB0_2003 Depth=1
	s_add_co_i32 s10, s8, 0x186
	s_mov_b32 s11, s9
	s_delay_alu instid0(SALU_CYCLE_1)
	v_mov_b64_e32 v[2:3], s[10:11]
	s_wait_xcnt 0x0
	global_store_b64 v0, v[2:3], s[6:7] scope:SCOPE_SYS
.LBB0_2784:                             ;   Parent Loop BB0_2003 Depth=1
                                        ; =>  This Inner Loop Header: Depth=2
	global_load_b64 v[2:3], v0, s[4:5] scope:SCOPE_SYS
	s_wait_loadcnt 0x0
	v_cmp_ne_u64_e32 vcc_lo, s[10:11], v[2:3]
	s_cbranch_vccnz .LBB0_2784
; %bb.2785:                             ;   in Loop: Header=BB0_2003 Depth=1
	s_add_co_i32 s10, s8, 0x187
	s_mov_b32 s11, s9
	s_delay_alu instid0(SALU_CYCLE_1)
	v_mov_b64_e32 v[2:3], s[10:11]
	s_wait_xcnt 0x0
	global_store_b64 v0, v[2:3], s[6:7] scope:SCOPE_SYS
.LBB0_2786:                             ;   Parent Loop BB0_2003 Depth=1
                                        ; =>  This Inner Loop Header: Depth=2
	global_load_b64 v[2:3], v0, s[4:5] scope:SCOPE_SYS
	s_wait_loadcnt 0x0
	v_cmp_ne_u64_e32 vcc_lo, s[10:11], v[2:3]
	s_cbranch_vccnz .LBB0_2786
; %bb.2787:                             ;   in Loop: Header=BB0_2003 Depth=1
	s_add_co_i32 s10, s8, 0x188
	s_mov_b32 s11, s9
	s_delay_alu instid0(SALU_CYCLE_1)
	v_mov_b64_e32 v[2:3], s[10:11]
	s_wait_xcnt 0x0
	global_store_b64 v0, v[2:3], s[6:7] scope:SCOPE_SYS
.LBB0_2788:                             ;   Parent Loop BB0_2003 Depth=1
                                        ; =>  This Inner Loop Header: Depth=2
	global_load_b64 v[2:3], v0, s[4:5] scope:SCOPE_SYS
	s_wait_loadcnt 0x0
	v_cmp_ne_u64_e32 vcc_lo, s[10:11], v[2:3]
	s_cbranch_vccnz .LBB0_2788
; %bb.2789:                             ;   in Loop: Header=BB0_2003 Depth=1
	s_add_co_i32 s10, s8, 0x189
	s_mov_b32 s11, s9
	s_delay_alu instid0(SALU_CYCLE_1)
	v_mov_b64_e32 v[2:3], s[10:11]
	s_wait_xcnt 0x0
	global_store_b64 v0, v[2:3], s[6:7] scope:SCOPE_SYS
.LBB0_2790:                             ;   Parent Loop BB0_2003 Depth=1
                                        ; =>  This Inner Loop Header: Depth=2
	global_load_b64 v[2:3], v0, s[4:5] scope:SCOPE_SYS
	s_wait_loadcnt 0x0
	v_cmp_ne_u64_e32 vcc_lo, s[10:11], v[2:3]
	s_cbranch_vccnz .LBB0_2790
; %bb.2791:                             ;   in Loop: Header=BB0_2003 Depth=1
	s_add_co_i32 s10, s8, 0x18a
	s_mov_b32 s11, s9
	s_delay_alu instid0(SALU_CYCLE_1)
	v_mov_b64_e32 v[2:3], s[10:11]
	s_wait_xcnt 0x0
	global_store_b64 v0, v[2:3], s[6:7] scope:SCOPE_SYS
.LBB0_2792:                             ;   Parent Loop BB0_2003 Depth=1
                                        ; =>  This Inner Loop Header: Depth=2
	global_load_b64 v[2:3], v0, s[4:5] scope:SCOPE_SYS
	s_wait_loadcnt 0x0
	v_cmp_ne_u64_e32 vcc_lo, s[10:11], v[2:3]
	s_cbranch_vccnz .LBB0_2792
; %bb.2793:                             ;   in Loop: Header=BB0_2003 Depth=1
	s_add_co_i32 s10, s8, 0x18b
	s_mov_b32 s11, s9
	s_delay_alu instid0(SALU_CYCLE_1)
	v_mov_b64_e32 v[2:3], s[10:11]
	s_wait_xcnt 0x0
	global_store_b64 v0, v[2:3], s[6:7] scope:SCOPE_SYS
.LBB0_2794:                             ;   Parent Loop BB0_2003 Depth=1
                                        ; =>  This Inner Loop Header: Depth=2
	global_load_b64 v[2:3], v0, s[4:5] scope:SCOPE_SYS
	s_wait_loadcnt 0x0
	v_cmp_ne_u64_e32 vcc_lo, s[10:11], v[2:3]
	s_cbranch_vccnz .LBB0_2794
; %bb.2795:                             ;   in Loop: Header=BB0_2003 Depth=1
	s_add_co_i32 s10, s8, 0x18c
	s_mov_b32 s11, s9
	s_delay_alu instid0(SALU_CYCLE_1)
	v_mov_b64_e32 v[2:3], s[10:11]
	s_wait_xcnt 0x0
	global_store_b64 v0, v[2:3], s[6:7] scope:SCOPE_SYS
.LBB0_2796:                             ;   Parent Loop BB0_2003 Depth=1
                                        ; =>  This Inner Loop Header: Depth=2
	global_load_b64 v[2:3], v0, s[4:5] scope:SCOPE_SYS
	s_wait_loadcnt 0x0
	v_cmp_ne_u64_e32 vcc_lo, s[10:11], v[2:3]
	s_cbranch_vccnz .LBB0_2796
; %bb.2797:                             ;   in Loop: Header=BB0_2003 Depth=1
	s_add_co_i32 s10, s8, 0x18d
	s_mov_b32 s11, s9
	s_delay_alu instid0(SALU_CYCLE_1)
	v_mov_b64_e32 v[2:3], s[10:11]
	s_wait_xcnt 0x0
	global_store_b64 v0, v[2:3], s[6:7] scope:SCOPE_SYS
.LBB0_2798:                             ;   Parent Loop BB0_2003 Depth=1
                                        ; =>  This Inner Loop Header: Depth=2
	global_load_b64 v[2:3], v0, s[4:5] scope:SCOPE_SYS
	s_wait_loadcnt 0x0
	v_cmp_ne_u64_e32 vcc_lo, s[10:11], v[2:3]
	s_cbranch_vccnz .LBB0_2798
; %bb.2799:                             ;   in Loop: Header=BB0_2003 Depth=1
	s_add_co_i32 s10, s8, 0x18e
	s_mov_b32 s11, s9
	s_delay_alu instid0(SALU_CYCLE_1)
	v_mov_b64_e32 v[2:3], s[10:11]
	s_wait_xcnt 0x0
	global_store_b64 v0, v[2:3], s[6:7] scope:SCOPE_SYS
.LBB0_2800:                             ;   Parent Loop BB0_2003 Depth=1
                                        ; =>  This Inner Loop Header: Depth=2
	global_load_b64 v[2:3], v0, s[4:5] scope:SCOPE_SYS
	s_wait_loadcnt 0x0
	v_cmp_ne_u64_e32 vcc_lo, s[10:11], v[2:3]
	s_cbranch_vccnz .LBB0_2800
; %bb.2801:                             ;   in Loop: Header=BB0_2003 Depth=1
	s_add_co_i32 s10, s8, 0x18f
	s_mov_b32 s11, s9
	s_delay_alu instid0(SALU_CYCLE_1)
	v_mov_b64_e32 v[2:3], s[10:11]
	s_wait_xcnt 0x0
	global_store_b64 v0, v[2:3], s[6:7] scope:SCOPE_SYS
.LBB0_2802:                             ;   Parent Loop BB0_2003 Depth=1
                                        ; =>  This Inner Loop Header: Depth=2
	global_load_b64 v[2:3], v0, s[4:5] scope:SCOPE_SYS
	s_wait_loadcnt 0x0
	v_cmp_ne_u64_e32 vcc_lo, s[10:11], v[2:3]
	s_cbranch_vccnz .LBB0_2802
; %bb.2803:                             ;   in Loop: Header=BB0_2003 Depth=1
	s_add_co_i32 s10, s8, 0x190
	s_mov_b32 s11, s9
	s_delay_alu instid0(SALU_CYCLE_1)
	v_mov_b64_e32 v[2:3], s[10:11]
	s_wait_xcnt 0x0
	global_store_b64 v0, v[2:3], s[6:7] scope:SCOPE_SYS
.LBB0_2804:                             ;   Parent Loop BB0_2003 Depth=1
                                        ; =>  This Inner Loop Header: Depth=2
	global_load_b64 v[2:3], v0, s[4:5] scope:SCOPE_SYS
	s_wait_loadcnt 0x0
	v_cmp_ne_u64_e32 vcc_lo, s[10:11], v[2:3]
	s_cbranch_vccnz .LBB0_2804
; %bb.2805:                             ;   in Loop: Header=BB0_2003 Depth=1
	s_add_co_i32 s10, s8, 0x191
	s_mov_b32 s11, s9
	s_delay_alu instid0(SALU_CYCLE_1)
	v_mov_b64_e32 v[2:3], s[10:11]
	s_wait_xcnt 0x0
	global_store_b64 v0, v[2:3], s[6:7] scope:SCOPE_SYS
.LBB0_2806:                             ;   Parent Loop BB0_2003 Depth=1
                                        ; =>  This Inner Loop Header: Depth=2
	global_load_b64 v[2:3], v0, s[4:5] scope:SCOPE_SYS
	s_wait_loadcnt 0x0
	v_cmp_ne_u64_e32 vcc_lo, s[10:11], v[2:3]
	s_cbranch_vccnz .LBB0_2806
; %bb.2807:                             ;   in Loop: Header=BB0_2003 Depth=1
	s_add_co_i32 s10, s8, 0x192
	s_mov_b32 s11, s9
	s_delay_alu instid0(SALU_CYCLE_1)
	v_mov_b64_e32 v[2:3], s[10:11]
	s_wait_xcnt 0x0
	global_store_b64 v0, v[2:3], s[6:7] scope:SCOPE_SYS
.LBB0_2808:                             ;   Parent Loop BB0_2003 Depth=1
                                        ; =>  This Inner Loop Header: Depth=2
	global_load_b64 v[2:3], v0, s[4:5] scope:SCOPE_SYS
	s_wait_loadcnt 0x0
	v_cmp_ne_u64_e32 vcc_lo, s[10:11], v[2:3]
	s_cbranch_vccnz .LBB0_2808
; %bb.2809:                             ;   in Loop: Header=BB0_2003 Depth=1
	s_add_co_i32 s10, s8, 0x193
	s_mov_b32 s11, s9
	s_delay_alu instid0(SALU_CYCLE_1)
	v_mov_b64_e32 v[2:3], s[10:11]
	s_wait_xcnt 0x0
	global_store_b64 v0, v[2:3], s[6:7] scope:SCOPE_SYS
.LBB0_2810:                             ;   Parent Loop BB0_2003 Depth=1
                                        ; =>  This Inner Loop Header: Depth=2
	global_load_b64 v[2:3], v0, s[4:5] scope:SCOPE_SYS
	s_wait_loadcnt 0x0
	v_cmp_ne_u64_e32 vcc_lo, s[10:11], v[2:3]
	s_cbranch_vccnz .LBB0_2810
; %bb.2811:                             ;   in Loop: Header=BB0_2003 Depth=1
	s_add_co_i32 s10, s8, 0x194
	s_mov_b32 s11, s9
	s_delay_alu instid0(SALU_CYCLE_1)
	v_mov_b64_e32 v[2:3], s[10:11]
	s_wait_xcnt 0x0
	global_store_b64 v0, v[2:3], s[6:7] scope:SCOPE_SYS
.LBB0_2812:                             ;   Parent Loop BB0_2003 Depth=1
                                        ; =>  This Inner Loop Header: Depth=2
	global_load_b64 v[2:3], v0, s[4:5] scope:SCOPE_SYS
	s_wait_loadcnt 0x0
	v_cmp_ne_u64_e32 vcc_lo, s[10:11], v[2:3]
	s_cbranch_vccnz .LBB0_2812
; %bb.2813:                             ;   in Loop: Header=BB0_2003 Depth=1
	s_add_co_i32 s10, s8, 0x195
	s_mov_b32 s11, s9
	s_delay_alu instid0(SALU_CYCLE_1)
	v_mov_b64_e32 v[2:3], s[10:11]
	s_wait_xcnt 0x0
	global_store_b64 v0, v[2:3], s[6:7] scope:SCOPE_SYS
.LBB0_2814:                             ;   Parent Loop BB0_2003 Depth=1
                                        ; =>  This Inner Loop Header: Depth=2
	global_load_b64 v[2:3], v0, s[4:5] scope:SCOPE_SYS
	s_wait_loadcnt 0x0
	v_cmp_ne_u64_e32 vcc_lo, s[10:11], v[2:3]
	s_cbranch_vccnz .LBB0_2814
; %bb.2815:                             ;   in Loop: Header=BB0_2003 Depth=1
	s_add_co_i32 s10, s8, 0x196
	s_mov_b32 s11, s9
	s_delay_alu instid0(SALU_CYCLE_1)
	v_mov_b64_e32 v[2:3], s[10:11]
	s_wait_xcnt 0x0
	global_store_b64 v0, v[2:3], s[6:7] scope:SCOPE_SYS
.LBB0_2816:                             ;   Parent Loop BB0_2003 Depth=1
                                        ; =>  This Inner Loop Header: Depth=2
	global_load_b64 v[2:3], v0, s[4:5] scope:SCOPE_SYS
	s_wait_loadcnt 0x0
	v_cmp_ne_u64_e32 vcc_lo, s[10:11], v[2:3]
	s_cbranch_vccnz .LBB0_2816
; %bb.2817:                             ;   in Loop: Header=BB0_2003 Depth=1
	s_add_co_i32 s10, s8, 0x197
	s_mov_b32 s11, s9
	s_delay_alu instid0(SALU_CYCLE_1)
	v_mov_b64_e32 v[2:3], s[10:11]
	s_wait_xcnt 0x0
	global_store_b64 v0, v[2:3], s[6:7] scope:SCOPE_SYS
.LBB0_2818:                             ;   Parent Loop BB0_2003 Depth=1
                                        ; =>  This Inner Loop Header: Depth=2
	global_load_b64 v[2:3], v0, s[4:5] scope:SCOPE_SYS
	s_wait_loadcnt 0x0
	v_cmp_ne_u64_e32 vcc_lo, s[10:11], v[2:3]
	s_cbranch_vccnz .LBB0_2818
; %bb.2819:                             ;   in Loop: Header=BB0_2003 Depth=1
	s_add_co_i32 s10, s8, 0x198
	s_mov_b32 s11, s9
	s_delay_alu instid0(SALU_CYCLE_1)
	v_mov_b64_e32 v[2:3], s[10:11]
	s_wait_xcnt 0x0
	global_store_b64 v0, v[2:3], s[6:7] scope:SCOPE_SYS
.LBB0_2820:                             ;   Parent Loop BB0_2003 Depth=1
                                        ; =>  This Inner Loop Header: Depth=2
	global_load_b64 v[2:3], v0, s[4:5] scope:SCOPE_SYS
	s_wait_loadcnt 0x0
	v_cmp_ne_u64_e32 vcc_lo, s[10:11], v[2:3]
	s_cbranch_vccnz .LBB0_2820
; %bb.2821:                             ;   in Loop: Header=BB0_2003 Depth=1
	s_add_co_i32 s10, s8, 0x199
	s_mov_b32 s11, s9
	s_delay_alu instid0(SALU_CYCLE_1)
	v_mov_b64_e32 v[2:3], s[10:11]
	s_wait_xcnt 0x0
	global_store_b64 v0, v[2:3], s[6:7] scope:SCOPE_SYS
.LBB0_2822:                             ;   Parent Loop BB0_2003 Depth=1
                                        ; =>  This Inner Loop Header: Depth=2
	global_load_b64 v[2:3], v0, s[4:5] scope:SCOPE_SYS
	s_wait_loadcnt 0x0
	v_cmp_ne_u64_e32 vcc_lo, s[10:11], v[2:3]
	s_cbranch_vccnz .LBB0_2822
; %bb.2823:                             ;   in Loop: Header=BB0_2003 Depth=1
	s_add_co_i32 s10, s8, 0x19a
	s_mov_b32 s11, s9
	s_delay_alu instid0(SALU_CYCLE_1)
	v_mov_b64_e32 v[2:3], s[10:11]
	s_wait_xcnt 0x0
	global_store_b64 v0, v[2:3], s[6:7] scope:SCOPE_SYS
.LBB0_2824:                             ;   Parent Loop BB0_2003 Depth=1
                                        ; =>  This Inner Loop Header: Depth=2
	global_load_b64 v[2:3], v0, s[4:5] scope:SCOPE_SYS
	s_wait_loadcnt 0x0
	v_cmp_ne_u64_e32 vcc_lo, s[10:11], v[2:3]
	s_cbranch_vccnz .LBB0_2824
; %bb.2825:                             ;   in Loop: Header=BB0_2003 Depth=1
	s_add_co_i32 s10, s8, 0x19b
	s_mov_b32 s11, s9
	s_delay_alu instid0(SALU_CYCLE_1)
	v_mov_b64_e32 v[2:3], s[10:11]
	s_wait_xcnt 0x0
	global_store_b64 v0, v[2:3], s[6:7] scope:SCOPE_SYS
.LBB0_2826:                             ;   Parent Loop BB0_2003 Depth=1
                                        ; =>  This Inner Loop Header: Depth=2
	global_load_b64 v[2:3], v0, s[4:5] scope:SCOPE_SYS
	s_wait_loadcnt 0x0
	v_cmp_ne_u64_e32 vcc_lo, s[10:11], v[2:3]
	s_cbranch_vccnz .LBB0_2826
; %bb.2827:                             ;   in Loop: Header=BB0_2003 Depth=1
	s_add_co_i32 s10, s8, 0x19c
	s_mov_b32 s11, s9
	s_delay_alu instid0(SALU_CYCLE_1)
	v_mov_b64_e32 v[2:3], s[10:11]
	s_wait_xcnt 0x0
	global_store_b64 v0, v[2:3], s[6:7] scope:SCOPE_SYS
.LBB0_2828:                             ;   Parent Loop BB0_2003 Depth=1
                                        ; =>  This Inner Loop Header: Depth=2
	global_load_b64 v[2:3], v0, s[4:5] scope:SCOPE_SYS
	s_wait_loadcnt 0x0
	v_cmp_ne_u64_e32 vcc_lo, s[10:11], v[2:3]
	s_cbranch_vccnz .LBB0_2828
; %bb.2829:                             ;   in Loop: Header=BB0_2003 Depth=1
	s_add_co_i32 s10, s8, 0x19d
	s_mov_b32 s11, s9
	s_delay_alu instid0(SALU_CYCLE_1)
	v_mov_b64_e32 v[2:3], s[10:11]
	s_wait_xcnt 0x0
	global_store_b64 v0, v[2:3], s[6:7] scope:SCOPE_SYS
.LBB0_2830:                             ;   Parent Loop BB0_2003 Depth=1
                                        ; =>  This Inner Loop Header: Depth=2
	global_load_b64 v[2:3], v0, s[4:5] scope:SCOPE_SYS
	s_wait_loadcnt 0x0
	v_cmp_ne_u64_e32 vcc_lo, s[10:11], v[2:3]
	s_cbranch_vccnz .LBB0_2830
; %bb.2831:                             ;   in Loop: Header=BB0_2003 Depth=1
	s_add_co_i32 s10, s8, 0x19e
	s_mov_b32 s11, s9
	s_delay_alu instid0(SALU_CYCLE_1)
	v_mov_b64_e32 v[2:3], s[10:11]
	s_wait_xcnt 0x0
	global_store_b64 v0, v[2:3], s[6:7] scope:SCOPE_SYS
.LBB0_2832:                             ;   Parent Loop BB0_2003 Depth=1
                                        ; =>  This Inner Loop Header: Depth=2
	global_load_b64 v[2:3], v0, s[4:5] scope:SCOPE_SYS
	s_wait_loadcnt 0x0
	v_cmp_ne_u64_e32 vcc_lo, s[10:11], v[2:3]
	s_cbranch_vccnz .LBB0_2832
; %bb.2833:                             ;   in Loop: Header=BB0_2003 Depth=1
	s_add_co_i32 s10, s8, 0x19f
	s_mov_b32 s11, s9
	s_delay_alu instid0(SALU_CYCLE_1)
	v_mov_b64_e32 v[2:3], s[10:11]
	s_wait_xcnt 0x0
	global_store_b64 v0, v[2:3], s[6:7] scope:SCOPE_SYS
.LBB0_2834:                             ;   Parent Loop BB0_2003 Depth=1
                                        ; =>  This Inner Loop Header: Depth=2
	global_load_b64 v[2:3], v0, s[4:5] scope:SCOPE_SYS
	s_wait_loadcnt 0x0
	v_cmp_ne_u64_e32 vcc_lo, s[10:11], v[2:3]
	s_cbranch_vccnz .LBB0_2834
; %bb.2835:                             ;   in Loop: Header=BB0_2003 Depth=1
	s_add_co_i32 s10, s8, 0x1a0
	s_mov_b32 s11, s9
	s_delay_alu instid0(SALU_CYCLE_1)
	v_mov_b64_e32 v[2:3], s[10:11]
	s_wait_xcnt 0x0
	global_store_b64 v0, v[2:3], s[6:7] scope:SCOPE_SYS
.LBB0_2836:                             ;   Parent Loop BB0_2003 Depth=1
                                        ; =>  This Inner Loop Header: Depth=2
	global_load_b64 v[2:3], v0, s[4:5] scope:SCOPE_SYS
	s_wait_loadcnt 0x0
	v_cmp_ne_u64_e32 vcc_lo, s[10:11], v[2:3]
	s_cbranch_vccnz .LBB0_2836
; %bb.2837:                             ;   in Loop: Header=BB0_2003 Depth=1
	s_add_co_i32 s10, s8, 0x1a1
	s_mov_b32 s11, s9
	s_delay_alu instid0(SALU_CYCLE_1)
	v_mov_b64_e32 v[2:3], s[10:11]
	s_wait_xcnt 0x0
	global_store_b64 v0, v[2:3], s[6:7] scope:SCOPE_SYS
.LBB0_2838:                             ;   Parent Loop BB0_2003 Depth=1
                                        ; =>  This Inner Loop Header: Depth=2
	global_load_b64 v[2:3], v0, s[4:5] scope:SCOPE_SYS
	s_wait_loadcnt 0x0
	v_cmp_ne_u64_e32 vcc_lo, s[10:11], v[2:3]
	s_cbranch_vccnz .LBB0_2838
; %bb.2839:                             ;   in Loop: Header=BB0_2003 Depth=1
	s_add_co_i32 s10, s8, 0x1a2
	s_mov_b32 s11, s9
	s_delay_alu instid0(SALU_CYCLE_1)
	v_mov_b64_e32 v[2:3], s[10:11]
	s_wait_xcnt 0x0
	global_store_b64 v0, v[2:3], s[6:7] scope:SCOPE_SYS
.LBB0_2840:                             ;   Parent Loop BB0_2003 Depth=1
                                        ; =>  This Inner Loop Header: Depth=2
	global_load_b64 v[2:3], v0, s[4:5] scope:SCOPE_SYS
	s_wait_loadcnt 0x0
	v_cmp_ne_u64_e32 vcc_lo, s[10:11], v[2:3]
	s_cbranch_vccnz .LBB0_2840
; %bb.2841:                             ;   in Loop: Header=BB0_2003 Depth=1
	s_add_co_i32 s10, s8, 0x1a3
	s_mov_b32 s11, s9
	s_delay_alu instid0(SALU_CYCLE_1)
	v_mov_b64_e32 v[2:3], s[10:11]
	s_wait_xcnt 0x0
	global_store_b64 v0, v[2:3], s[6:7] scope:SCOPE_SYS
.LBB0_2842:                             ;   Parent Loop BB0_2003 Depth=1
                                        ; =>  This Inner Loop Header: Depth=2
	global_load_b64 v[2:3], v0, s[4:5] scope:SCOPE_SYS
	s_wait_loadcnt 0x0
	v_cmp_ne_u64_e32 vcc_lo, s[10:11], v[2:3]
	s_cbranch_vccnz .LBB0_2842
; %bb.2843:                             ;   in Loop: Header=BB0_2003 Depth=1
	s_add_co_i32 s10, s8, 0x1a4
	s_mov_b32 s11, s9
	s_delay_alu instid0(SALU_CYCLE_1)
	v_mov_b64_e32 v[2:3], s[10:11]
	s_wait_xcnt 0x0
	global_store_b64 v0, v[2:3], s[6:7] scope:SCOPE_SYS
.LBB0_2844:                             ;   Parent Loop BB0_2003 Depth=1
                                        ; =>  This Inner Loop Header: Depth=2
	global_load_b64 v[2:3], v0, s[4:5] scope:SCOPE_SYS
	s_wait_loadcnt 0x0
	v_cmp_ne_u64_e32 vcc_lo, s[10:11], v[2:3]
	s_cbranch_vccnz .LBB0_2844
; %bb.2845:                             ;   in Loop: Header=BB0_2003 Depth=1
	s_add_co_i32 s10, s8, 0x1a5
	s_mov_b32 s11, s9
	s_delay_alu instid0(SALU_CYCLE_1)
	v_mov_b64_e32 v[2:3], s[10:11]
	s_wait_xcnt 0x0
	global_store_b64 v0, v[2:3], s[6:7] scope:SCOPE_SYS
.LBB0_2846:                             ;   Parent Loop BB0_2003 Depth=1
                                        ; =>  This Inner Loop Header: Depth=2
	global_load_b64 v[2:3], v0, s[4:5] scope:SCOPE_SYS
	s_wait_loadcnt 0x0
	v_cmp_ne_u64_e32 vcc_lo, s[10:11], v[2:3]
	s_cbranch_vccnz .LBB0_2846
; %bb.2847:                             ;   in Loop: Header=BB0_2003 Depth=1
	s_add_co_i32 s10, s8, 0x1a6
	s_mov_b32 s11, s9
	s_delay_alu instid0(SALU_CYCLE_1)
	v_mov_b64_e32 v[2:3], s[10:11]
	s_wait_xcnt 0x0
	global_store_b64 v0, v[2:3], s[6:7] scope:SCOPE_SYS
.LBB0_2848:                             ;   Parent Loop BB0_2003 Depth=1
                                        ; =>  This Inner Loop Header: Depth=2
	global_load_b64 v[2:3], v0, s[4:5] scope:SCOPE_SYS
	s_wait_loadcnt 0x0
	v_cmp_ne_u64_e32 vcc_lo, s[10:11], v[2:3]
	s_cbranch_vccnz .LBB0_2848
; %bb.2849:                             ;   in Loop: Header=BB0_2003 Depth=1
	s_add_co_i32 s10, s8, 0x1a7
	s_mov_b32 s11, s9
	s_delay_alu instid0(SALU_CYCLE_1)
	v_mov_b64_e32 v[2:3], s[10:11]
	s_wait_xcnt 0x0
	global_store_b64 v0, v[2:3], s[6:7] scope:SCOPE_SYS
.LBB0_2850:                             ;   Parent Loop BB0_2003 Depth=1
                                        ; =>  This Inner Loop Header: Depth=2
	global_load_b64 v[2:3], v0, s[4:5] scope:SCOPE_SYS
	s_wait_loadcnt 0x0
	v_cmp_ne_u64_e32 vcc_lo, s[10:11], v[2:3]
	s_cbranch_vccnz .LBB0_2850
; %bb.2851:                             ;   in Loop: Header=BB0_2003 Depth=1
	s_add_co_i32 s10, s8, 0x1a8
	s_mov_b32 s11, s9
	s_delay_alu instid0(SALU_CYCLE_1)
	v_mov_b64_e32 v[2:3], s[10:11]
	s_wait_xcnt 0x0
	global_store_b64 v0, v[2:3], s[6:7] scope:SCOPE_SYS
.LBB0_2852:                             ;   Parent Loop BB0_2003 Depth=1
                                        ; =>  This Inner Loop Header: Depth=2
	global_load_b64 v[2:3], v0, s[4:5] scope:SCOPE_SYS
	s_wait_loadcnt 0x0
	v_cmp_ne_u64_e32 vcc_lo, s[10:11], v[2:3]
	s_cbranch_vccnz .LBB0_2852
; %bb.2853:                             ;   in Loop: Header=BB0_2003 Depth=1
	s_add_co_i32 s10, s8, 0x1a9
	s_mov_b32 s11, s9
	s_delay_alu instid0(SALU_CYCLE_1)
	v_mov_b64_e32 v[2:3], s[10:11]
	s_wait_xcnt 0x0
	global_store_b64 v0, v[2:3], s[6:7] scope:SCOPE_SYS
.LBB0_2854:                             ;   Parent Loop BB0_2003 Depth=1
                                        ; =>  This Inner Loop Header: Depth=2
	global_load_b64 v[2:3], v0, s[4:5] scope:SCOPE_SYS
	s_wait_loadcnt 0x0
	v_cmp_ne_u64_e32 vcc_lo, s[10:11], v[2:3]
	s_cbranch_vccnz .LBB0_2854
; %bb.2855:                             ;   in Loop: Header=BB0_2003 Depth=1
	s_add_co_i32 s10, s8, 0x1aa
	s_mov_b32 s11, s9
	s_delay_alu instid0(SALU_CYCLE_1)
	v_mov_b64_e32 v[2:3], s[10:11]
	s_wait_xcnt 0x0
	global_store_b64 v0, v[2:3], s[6:7] scope:SCOPE_SYS
.LBB0_2856:                             ;   Parent Loop BB0_2003 Depth=1
                                        ; =>  This Inner Loop Header: Depth=2
	global_load_b64 v[2:3], v0, s[4:5] scope:SCOPE_SYS
	s_wait_loadcnt 0x0
	v_cmp_ne_u64_e32 vcc_lo, s[10:11], v[2:3]
	s_cbranch_vccnz .LBB0_2856
; %bb.2857:                             ;   in Loop: Header=BB0_2003 Depth=1
	s_add_co_i32 s10, s8, 0x1ab
	s_mov_b32 s11, s9
	s_delay_alu instid0(SALU_CYCLE_1)
	v_mov_b64_e32 v[2:3], s[10:11]
	s_wait_xcnt 0x0
	global_store_b64 v0, v[2:3], s[6:7] scope:SCOPE_SYS
.LBB0_2858:                             ;   Parent Loop BB0_2003 Depth=1
                                        ; =>  This Inner Loop Header: Depth=2
	global_load_b64 v[2:3], v0, s[4:5] scope:SCOPE_SYS
	s_wait_loadcnt 0x0
	v_cmp_ne_u64_e32 vcc_lo, s[10:11], v[2:3]
	s_cbranch_vccnz .LBB0_2858
; %bb.2859:                             ;   in Loop: Header=BB0_2003 Depth=1
	s_add_co_i32 s10, s8, 0x1ac
	s_mov_b32 s11, s9
	s_delay_alu instid0(SALU_CYCLE_1)
	v_mov_b64_e32 v[2:3], s[10:11]
	s_wait_xcnt 0x0
	global_store_b64 v0, v[2:3], s[6:7] scope:SCOPE_SYS
.LBB0_2860:                             ;   Parent Loop BB0_2003 Depth=1
                                        ; =>  This Inner Loop Header: Depth=2
	global_load_b64 v[2:3], v0, s[4:5] scope:SCOPE_SYS
	s_wait_loadcnt 0x0
	v_cmp_ne_u64_e32 vcc_lo, s[10:11], v[2:3]
	s_cbranch_vccnz .LBB0_2860
; %bb.2861:                             ;   in Loop: Header=BB0_2003 Depth=1
	s_add_co_i32 s10, s8, 0x1ad
	s_mov_b32 s11, s9
	s_delay_alu instid0(SALU_CYCLE_1)
	v_mov_b64_e32 v[2:3], s[10:11]
	s_wait_xcnt 0x0
	global_store_b64 v0, v[2:3], s[6:7] scope:SCOPE_SYS
.LBB0_2862:                             ;   Parent Loop BB0_2003 Depth=1
                                        ; =>  This Inner Loop Header: Depth=2
	global_load_b64 v[2:3], v0, s[4:5] scope:SCOPE_SYS
	s_wait_loadcnt 0x0
	v_cmp_ne_u64_e32 vcc_lo, s[10:11], v[2:3]
	s_cbranch_vccnz .LBB0_2862
; %bb.2863:                             ;   in Loop: Header=BB0_2003 Depth=1
	s_add_co_i32 s10, s8, 0x1ae
	s_mov_b32 s11, s9
	s_delay_alu instid0(SALU_CYCLE_1)
	v_mov_b64_e32 v[2:3], s[10:11]
	s_wait_xcnt 0x0
	global_store_b64 v0, v[2:3], s[6:7] scope:SCOPE_SYS
.LBB0_2864:                             ;   Parent Loop BB0_2003 Depth=1
                                        ; =>  This Inner Loop Header: Depth=2
	global_load_b64 v[2:3], v0, s[4:5] scope:SCOPE_SYS
	s_wait_loadcnt 0x0
	v_cmp_ne_u64_e32 vcc_lo, s[10:11], v[2:3]
	s_cbranch_vccnz .LBB0_2864
; %bb.2865:                             ;   in Loop: Header=BB0_2003 Depth=1
	s_add_co_i32 s10, s8, 0x1af
	s_mov_b32 s11, s9
	s_delay_alu instid0(SALU_CYCLE_1)
	v_mov_b64_e32 v[2:3], s[10:11]
	s_wait_xcnt 0x0
	global_store_b64 v0, v[2:3], s[6:7] scope:SCOPE_SYS
.LBB0_2866:                             ;   Parent Loop BB0_2003 Depth=1
                                        ; =>  This Inner Loop Header: Depth=2
	global_load_b64 v[2:3], v0, s[4:5] scope:SCOPE_SYS
	s_wait_loadcnt 0x0
	v_cmp_ne_u64_e32 vcc_lo, s[10:11], v[2:3]
	s_cbranch_vccnz .LBB0_2866
; %bb.2867:                             ;   in Loop: Header=BB0_2003 Depth=1
	s_add_co_i32 s10, s8, 0x1b0
	s_mov_b32 s11, s9
	s_delay_alu instid0(SALU_CYCLE_1)
	v_mov_b64_e32 v[2:3], s[10:11]
	s_wait_xcnt 0x0
	global_store_b64 v0, v[2:3], s[6:7] scope:SCOPE_SYS
.LBB0_2868:                             ;   Parent Loop BB0_2003 Depth=1
                                        ; =>  This Inner Loop Header: Depth=2
	global_load_b64 v[2:3], v0, s[4:5] scope:SCOPE_SYS
	s_wait_loadcnt 0x0
	v_cmp_ne_u64_e32 vcc_lo, s[10:11], v[2:3]
	s_cbranch_vccnz .LBB0_2868
; %bb.2869:                             ;   in Loop: Header=BB0_2003 Depth=1
	s_add_co_i32 s10, s8, 0x1b1
	s_mov_b32 s11, s9
	s_delay_alu instid0(SALU_CYCLE_1)
	v_mov_b64_e32 v[2:3], s[10:11]
	s_wait_xcnt 0x0
	global_store_b64 v0, v[2:3], s[6:7] scope:SCOPE_SYS
.LBB0_2870:                             ;   Parent Loop BB0_2003 Depth=1
                                        ; =>  This Inner Loop Header: Depth=2
	global_load_b64 v[2:3], v0, s[4:5] scope:SCOPE_SYS
	s_wait_loadcnt 0x0
	v_cmp_ne_u64_e32 vcc_lo, s[10:11], v[2:3]
	s_cbranch_vccnz .LBB0_2870
; %bb.2871:                             ;   in Loop: Header=BB0_2003 Depth=1
	s_add_co_i32 s10, s8, 0x1b2
	s_mov_b32 s11, s9
	s_delay_alu instid0(SALU_CYCLE_1)
	v_mov_b64_e32 v[2:3], s[10:11]
	s_wait_xcnt 0x0
	global_store_b64 v0, v[2:3], s[6:7] scope:SCOPE_SYS
.LBB0_2872:                             ;   Parent Loop BB0_2003 Depth=1
                                        ; =>  This Inner Loop Header: Depth=2
	global_load_b64 v[2:3], v0, s[4:5] scope:SCOPE_SYS
	s_wait_loadcnt 0x0
	v_cmp_ne_u64_e32 vcc_lo, s[10:11], v[2:3]
	s_cbranch_vccnz .LBB0_2872
; %bb.2873:                             ;   in Loop: Header=BB0_2003 Depth=1
	s_add_co_i32 s10, s8, 0x1b3
	s_mov_b32 s11, s9
	s_delay_alu instid0(SALU_CYCLE_1)
	v_mov_b64_e32 v[2:3], s[10:11]
	s_wait_xcnt 0x0
	global_store_b64 v0, v[2:3], s[6:7] scope:SCOPE_SYS
.LBB0_2874:                             ;   Parent Loop BB0_2003 Depth=1
                                        ; =>  This Inner Loop Header: Depth=2
	global_load_b64 v[2:3], v0, s[4:5] scope:SCOPE_SYS
	s_wait_loadcnt 0x0
	v_cmp_ne_u64_e32 vcc_lo, s[10:11], v[2:3]
	s_cbranch_vccnz .LBB0_2874
; %bb.2875:                             ;   in Loop: Header=BB0_2003 Depth=1
	s_add_co_i32 s10, s8, 0x1b4
	s_mov_b32 s11, s9
	s_delay_alu instid0(SALU_CYCLE_1)
	v_mov_b64_e32 v[2:3], s[10:11]
	s_wait_xcnt 0x0
	global_store_b64 v0, v[2:3], s[6:7] scope:SCOPE_SYS
.LBB0_2876:                             ;   Parent Loop BB0_2003 Depth=1
                                        ; =>  This Inner Loop Header: Depth=2
	global_load_b64 v[2:3], v0, s[4:5] scope:SCOPE_SYS
	s_wait_loadcnt 0x0
	v_cmp_ne_u64_e32 vcc_lo, s[10:11], v[2:3]
	s_cbranch_vccnz .LBB0_2876
; %bb.2877:                             ;   in Loop: Header=BB0_2003 Depth=1
	s_add_co_i32 s10, s8, 0x1b5
	s_mov_b32 s11, s9
	s_delay_alu instid0(SALU_CYCLE_1)
	v_mov_b64_e32 v[2:3], s[10:11]
	s_wait_xcnt 0x0
	global_store_b64 v0, v[2:3], s[6:7] scope:SCOPE_SYS
.LBB0_2878:                             ;   Parent Loop BB0_2003 Depth=1
                                        ; =>  This Inner Loop Header: Depth=2
	global_load_b64 v[2:3], v0, s[4:5] scope:SCOPE_SYS
	s_wait_loadcnt 0x0
	v_cmp_ne_u64_e32 vcc_lo, s[10:11], v[2:3]
	s_cbranch_vccnz .LBB0_2878
; %bb.2879:                             ;   in Loop: Header=BB0_2003 Depth=1
	s_add_co_i32 s10, s8, 0x1b6
	s_mov_b32 s11, s9
	s_delay_alu instid0(SALU_CYCLE_1)
	v_mov_b64_e32 v[2:3], s[10:11]
	s_wait_xcnt 0x0
	global_store_b64 v0, v[2:3], s[6:7] scope:SCOPE_SYS
.LBB0_2880:                             ;   Parent Loop BB0_2003 Depth=1
                                        ; =>  This Inner Loop Header: Depth=2
	global_load_b64 v[2:3], v0, s[4:5] scope:SCOPE_SYS
	s_wait_loadcnt 0x0
	v_cmp_ne_u64_e32 vcc_lo, s[10:11], v[2:3]
	s_cbranch_vccnz .LBB0_2880
; %bb.2881:                             ;   in Loop: Header=BB0_2003 Depth=1
	s_add_co_i32 s10, s8, 0x1b7
	s_mov_b32 s11, s9
	s_delay_alu instid0(SALU_CYCLE_1)
	v_mov_b64_e32 v[2:3], s[10:11]
	s_wait_xcnt 0x0
	global_store_b64 v0, v[2:3], s[6:7] scope:SCOPE_SYS
.LBB0_2882:                             ;   Parent Loop BB0_2003 Depth=1
                                        ; =>  This Inner Loop Header: Depth=2
	global_load_b64 v[2:3], v0, s[4:5] scope:SCOPE_SYS
	s_wait_loadcnt 0x0
	v_cmp_ne_u64_e32 vcc_lo, s[10:11], v[2:3]
	s_cbranch_vccnz .LBB0_2882
; %bb.2883:                             ;   in Loop: Header=BB0_2003 Depth=1
	s_add_co_i32 s10, s8, 0x1b8
	s_mov_b32 s11, s9
	s_delay_alu instid0(SALU_CYCLE_1)
	v_mov_b64_e32 v[2:3], s[10:11]
	s_wait_xcnt 0x0
	global_store_b64 v0, v[2:3], s[6:7] scope:SCOPE_SYS
.LBB0_2884:                             ;   Parent Loop BB0_2003 Depth=1
                                        ; =>  This Inner Loop Header: Depth=2
	global_load_b64 v[2:3], v0, s[4:5] scope:SCOPE_SYS
	s_wait_loadcnt 0x0
	v_cmp_ne_u64_e32 vcc_lo, s[10:11], v[2:3]
	s_cbranch_vccnz .LBB0_2884
; %bb.2885:                             ;   in Loop: Header=BB0_2003 Depth=1
	s_add_co_i32 s10, s8, 0x1b9
	s_mov_b32 s11, s9
	s_delay_alu instid0(SALU_CYCLE_1)
	v_mov_b64_e32 v[2:3], s[10:11]
	s_wait_xcnt 0x0
	global_store_b64 v0, v[2:3], s[6:7] scope:SCOPE_SYS
.LBB0_2886:                             ;   Parent Loop BB0_2003 Depth=1
                                        ; =>  This Inner Loop Header: Depth=2
	global_load_b64 v[2:3], v0, s[4:5] scope:SCOPE_SYS
	s_wait_loadcnt 0x0
	v_cmp_ne_u64_e32 vcc_lo, s[10:11], v[2:3]
	s_cbranch_vccnz .LBB0_2886
; %bb.2887:                             ;   in Loop: Header=BB0_2003 Depth=1
	s_add_co_i32 s10, s8, 0x1ba
	s_mov_b32 s11, s9
	s_delay_alu instid0(SALU_CYCLE_1)
	v_mov_b64_e32 v[2:3], s[10:11]
	s_wait_xcnt 0x0
	global_store_b64 v0, v[2:3], s[6:7] scope:SCOPE_SYS
.LBB0_2888:                             ;   Parent Loop BB0_2003 Depth=1
                                        ; =>  This Inner Loop Header: Depth=2
	global_load_b64 v[2:3], v0, s[4:5] scope:SCOPE_SYS
	s_wait_loadcnt 0x0
	v_cmp_ne_u64_e32 vcc_lo, s[10:11], v[2:3]
	s_cbranch_vccnz .LBB0_2888
; %bb.2889:                             ;   in Loop: Header=BB0_2003 Depth=1
	s_add_co_i32 s10, s8, 0x1bb
	s_mov_b32 s11, s9
	s_delay_alu instid0(SALU_CYCLE_1)
	v_mov_b64_e32 v[2:3], s[10:11]
	s_wait_xcnt 0x0
	global_store_b64 v0, v[2:3], s[6:7] scope:SCOPE_SYS
.LBB0_2890:                             ;   Parent Loop BB0_2003 Depth=1
                                        ; =>  This Inner Loop Header: Depth=2
	global_load_b64 v[2:3], v0, s[4:5] scope:SCOPE_SYS
	s_wait_loadcnt 0x0
	v_cmp_ne_u64_e32 vcc_lo, s[10:11], v[2:3]
	s_cbranch_vccnz .LBB0_2890
; %bb.2891:                             ;   in Loop: Header=BB0_2003 Depth=1
	s_add_co_i32 s10, s8, 0x1bc
	s_mov_b32 s11, s9
	s_delay_alu instid0(SALU_CYCLE_1)
	v_mov_b64_e32 v[2:3], s[10:11]
	s_wait_xcnt 0x0
	global_store_b64 v0, v[2:3], s[6:7] scope:SCOPE_SYS
.LBB0_2892:                             ;   Parent Loop BB0_2003 Depth=1
                                        ; =>  This Inner Loop Header: Depth=2
	global_load_b64 v[2:3], v0, s[4:5] scope:SCOPE_SYS
	s_wait_loadcnt 0x0
	v_cmp_ne_u64_e32 vcc_lo, s[10:11], v[2:3]
	s_cbranch_vccnz .LBB0_2892
; %bb.2893:                             ;   in Loop: Header=BB0_2003 Depth=1
	s_add_co_i32 s10, s8, 0x1bd
	s_mov_b32 s11, s9
	s_delay_alu instid0(SALU_CYCLE_1)
	v_mov_b64_e32 v[2:3], s[10:11]
	s_wait_xcnt 0x0
	global_store_b64 v0, v[2:3], s[6:7] scope:SCOPE_SYS
.LBB0_2894:                             ;   Parent Loop BB0_2003 Depth=1
                                        ; =>  This Inner Loop Header: Depth=2
	global_load_b64 v[2:3], v0, s[4:5] scope:SCOPE_SYS
	s_wait_loadcnt 0x0
	v_cmp_ne_u64_e32 vcc_lo, s[10:11], v[2:3]
	s_cbranch_vccnz .LBB0_2894
; %bb.2895:                             ;   in Loop: Header=BB0_2003 Depth=1
	s_add_co_i32 s10, s8, 0x1be
	s_mov_b32 s11, s9
	s_delay_alu instid0(SALU_CYCLE_1)
	v_mov_b64_e32 v[2:3], s[10:11]
	s_wait_xcnt 0x0
	global_store_b64 v0, v[2:3], s[6:7] scope:SCOPE_SYS
.LBB0_2896:                             ;   Parent Loop BB0_2003 Depth=1
                                        ; =>  This Inner Loop Header: Depth=2
	global_load_b64 v[2:3], v0, s[4:5] scope:SCOPE_SYS
	s_wait_loadcnt 0x0
	v_cmp_ne_u64_e32 vcc_lo, s[10:11], v[2:3]
	s_cbranch_vccnz .LBB0_2896
; %bb.2897:                             ;   in Loop: Header=BB0_2003 Depth=1
	s_add_co_i32 s10, s8, 0x1bf
	s_mov_b32 s11, s9
	s_delay_alu instid0(SALU_CYCLE_1)
	v_mov_b64_e32 v[2:3], s[10:11]
	s_wait_xcnt 0x0
	global_store_b64 v0, v[2:3], s[6:7] scope:SCOPE_SYS
.LBB0_2898:                             ;   Parent Loop BB0_2003 Depth=1
                                        ; =>  This Inner Loop Header: Depth=2
	global_load_b64 v[2:3], v0, s[4:5] scope:SCOPE_SYS
	s_wait_loadcnt 0x0
	v_cmp_ne_u64_e32 vcc_lo, s[10:11], v[2:3]
	s_cbranch_vccnz .LBB0_2898
; %bb.2899:                             ;   in Loop: Header=BB0_2003 Depth=1
	s_add_co_i32 s10, s8, 0x1c0
	s_mov_b32 s11, s9
	s_delay_alu instid0(SALU_CYCLE_1)
	v_mov_b64_e32 v[2:3], s[10:11]
	s_wait_xcnt 0x0
	global_store_b64 v0, v[2:3], s[6:7] scope:SCOPE_SYS
.LBB0_2900:                             ;   Parent Loop BB0_2003 Depth=1
                                        ; =>  This Inner Loop Header: Depth=2
	global_load_b64 v[2:3], v0, s[4:5] scope:SCOPE_SYS
	s_wait_loadcnt 0x0
	v_cmp_ne_u64_e32 vcc_lo, s[10:11], v[2:3]
	s_cbranch_vccnz .LBB0_2900
; %bb.2901:                             ;   in Loop: Header=BB0_2003 Depth=1
	s_add_co_i32 s10, s8, 0x1c1
	s_mov_b32 s11, s9
	s_delay_alu instid0(SALU_CYCLE_1)
	v_mov_b64_e32 v[2:3], s[10:11]
	s_wait_xcnt 0x0
	global_store_b64 v0, v[2:3], s[6:7] scope:SCOPE_SYS
.LBB0_2902:                             ;   Parent Loop BB0_2003 Depth=1
                                        ; =>  This Inner Loop Header: Depth=2
	global_load_b64 v[2:3], v0, s[4:5] scope:SCOPE_SYS
	s_wait_loadcnt 0x0
	v_cmp_ne_u64_e32 vcc_lo, s[10:11], v[2:3]
	s_cbranch_vccnz .LBB0_2902
; %bb.2903:                             ;   in Loop: Header=BB0_2003 Depth=1
	s_add_co_i32 s10, s8, 0x1c2
	s_mov_b32 s11, s9
	s_delay_alu instid0(SALU_CYCLE_1)
	v_mov_b64_e32 v[2:3], s[10:11]
	s_wait_xcnt 0x0
	global_store_b64 v0, v[2:3], s[6:7] scope:SCOPE_SYS
.LBB0_2904:                             ;   Parent Loop BB0_2003 Depth=1
                                        ; =>  This Inner Loop Header: Depth=2
	global_load_b64 v[2:3], v0, s[4:5] scope:SCOPE_SYS
	s_wait_loadcnt 0x0
	v_cmp_ne_u64_e32 vcc_lo, s[10:11], v[2:3]
	s_cbranch_vccnz .LBB0_2904
; %bb.2905:                             ;   in Loop: Header=BB0_2003 Depth=1
	s_add_co_i32 s10, s8, 0x1c3
	s_mov_b32 s11, s9
	s_delay_alu instid0(SALU_CYCLE_1)
	v_mov_b64_e32 v[2:3], s[10:11]
	s_wait_xcnt 0x0
	global_store_b64 v0, v[2:3], s[6:7] scope:SCOPE_SYS
.LBB0_2906:                             ;   Parent Loop BB0_2003 Depth=1
                                        ; =>  This Inner Loop Header: Depth=2
	global_load_b64 v[2:3], v0, s[4:5] scope:SCOPE_SYS
	s_wait_loadcnt 0x0
	v_cmp_ne_u64_e32 vcc_lo, s[10:11], v[2:3]
	s_cbranch_vccnz .LBB0_2906
; %bb.2907:                             ;   in Loop: Header=BB0_2003 Depth=1
	s_add_co_i32 s10, s8, 0x1c4
	s_mov_b32 s11, s9
	s_delay_alu instid0(SALU_CYCLE_1)
	v_mov_b64_e32 v[2:3], s[10:11]
	s_wait_xcnt 0x0
	global_store_b64 v0, v[2:3], s[6:7] scope:SCOPE_SYS
.LBB0_2908:                             ;   Parent Loop BB0_2003 Depth=1
                                        ; =>  This Inner Loop Header: Depth=2
	global_load_b64 v[2:3], v0, s[4:5] scope:SCOPE_SYS
	s_wait_loadcnt 0x0
	v_cmp_ne_u64_e32 vcc_lo, s[10:11], v[2:3]
	s_cbranch_vccnz .LBB0_2908
; %bb.2909:                             ;   in Loop: Header=BB0_2003 Depth=1
	s_add_co_i32 s10, s8, 0x1c5
	s_mov_b32 s11, s9
	s_delay_alu instid0(SALU_CYCLE_1)
	v_mov_b64_e32 v[2:3], s[10:11]
	s_wait_xcnt 0x0
	global_store_b64 v0, v[2:3], s[6:7] scope:SCOPE_SYS
.LBB0_2910:                             ;   Parent Loop BB0_2003 Depth=1
                                        ; =>  This Inner Loop Header: Depth=2
	global_load_b64 v[2:3], v0, s[4:5] scope:SCOPE_SYS
	s_wait_loadcnt 0x0
	v_cmp_ne_u64_e32 vcc_lo, s[10:11], v[2:3]
	s_cbranch_vccnz .LBB0_2910
; %bb.2911:                             ;   in Loop: Header=BB0_2003 Depth=1
	s_add_co_i32 s10, s8, 0x1c6
	s_mov_b32 s11, s9
	s_delay_alu instid0(SALU_CYCLE_1)
	v_mov_b64_e32 v[2:3], s[10:11]
	s_wait_xcnt 0x0
	global_store_b64 v0, v[2:3], s[6:7] scope:SCOPE_SYS
.LBB0_2912:                             ;   Parent Loop BB0_2003 Depth=1
                                        ; =>  This Inner Loop Header: Depth=2
	global_load_b64 v[2:3], v0, s[4:5] scope:SCOPE_SYS
	s_wait_loadcnt 0x0
	v_cmp_ne_u64_e32 vcc_lo, s[10:11], v[2:3]
	s_cbranch_vccnz .LBB0_2912
; %bb.2913:                             ;   in Loop: Header=BB0_2003 Depth=1
	s_add_co_i32 s10, s8, 0x1c7
	s_mov_b32 s11, s9
	s_delay_alu instid0(SALU_CYCLE_1)
	v_mov_b64_e32 v[2:3], s[10:11]
	s_wait_xcnt 0x0
	global_store_b64 v0, v[2:3], s[6:7] scope:SCOPE_SYS
.LBB0_2914:                             ;   Parent Loop BB0_2003 Depth=1
                                        ; =>  This Inner Loop Header: Depth=2
	global_load_b64 v[2:3], v0, s[4:5] scope:SCOPE_SYS
	s_wait_loadcnt 0x0
	v_cmp_ne_u64_e32 vcc_lo, s[10:11], v[2:3]
	s_cbranch_vccnz .LBB0_2914
; %bb.2915:                             ;   in Loop: Header=BB0_2003 Depth=1
	s_add_co_i32 s10, s8, 0x1c8
	s_mov_b32 s11, s9
	s_delay_alu instid0(SALU_CYCLE_1)
	v_mov_b64_e32 v[2:3], s[10:11]
	s_wait_xcnt 0x0
	global_store_b64 v0, v[2:3], s[6:7] scope:SCOPE_SYS
.LBB0_2916:                             ;   Parent Loop BB0_2003 Depth=1
                                        ; =>  This Inner Loop Header: Depth=2
	global_load_b64 v[2:3], v0, s[4:5] scope:SCOPE_SYS
	s_wait_loadcnt 0x0
	v_cmp_ne_u64_e32 vcc_lo, s[10:11], v[2:3]
	s_cbranch_vccnz .LBB0_2916
; %bb.2917:                             ;   in Loop: Header=BB0_2003 Depth=1
	s_add_co_i32 s10, s8, 0x1c9
	s_mov_b32 s11, s9
	s_delay_alu instid0(SALU_CYCLE_1)
	v_mov_b64_e32 v[2:3], s[10:11]
	s_wait_xcnt 0x0
	global_store_b64 v0, v[2:3], s[6:7] scope:SCOPE_SYS
.LBB0_2918:                             ;   Parent Loop BB0_2003 Depth=1
                                        ; =>  This Inner Loop Header: Depth=2
	global_load_b64 v[2:3], v0, s[4:5] scope:SCOPE_SYS
	s_wait_loadcnt 0x0
	v_cmp_ne_u64_e32 vcc_lo, s[10:11], v[2:3]
	s_cbranch_vccnz .LBB0_2918
; %bb.2919:                             ;   in Loop: Header=BB0_2003 Depth=1
	s_add_co_i32 s10, s8, 0x1ca
	s_mov_b32 s11, s9
	s_delay_alu instid0(SALU_CYCLE_1)
	v_mov_b64_e32 v[2:3], s[10:11]
	s_wait_xcnt 0x0
	global_store_b64 v0, v[2:3], s[6:7] scope:SCOPE_SYS
.LBB0_2920:                             ;   Parent Loop BB0_2003 Depth=1
                                        ; =>  This Inner Loop Header: Depth=2
	global_load_b64 v[2:3], v0, s[4:5] scope:SCOPE_SYS
	s_wait_loadcnt 0x0
	v_cmp_ne_u64_e32 vcc_lo, s[10:11], v[2:3]
	s_cbranch_vccnz .LBB0_2920
; %bb.2921:                             ;   in Loop: Header=BB0_2003 Depth=1
	s_add_co_i32 s10, s8, 0x1cb
	s_mov_b32 s11, s9
	s_delay_alu instid0(SALU_CYCLE_1)
	v_mov_b64_e32 v[2:3], s[10:11]
	s_wait_xcnt 0x0
	global_store_b64 v0, v[2:3], s[6:7] scope:SCOPE_SYS
.LBB0_2922:                             ;   Parent Loop BB0_2003 Depth=1
                                        ; =>  This Inner Loop Header: Depth=2
	global_load_b64 v[2:3], v0, s[4:5] scope:SCOPE_SYS
	s_wait_loadcnt 0x0
	v_cmp_ne_u64_e32 vcc_lo, s[10:11], v[2:3]
	s_cbranch_vccnz .LBB0_2922
; %bb.2923:                             ;   in Loop: Header=BB0_2003 Depth=1
	s_add_co_i32 s10, s8, 0x1cc
	s_mov_b32 s11, s9
	s_delay_alu instid0(SALU_CYCLE_1)
	v_mov_b64_e32 v[2:3], s[10:11]
	s_wait_xcnt 0x0
	global_store_b64 v0, v[2:3], s[6:7] scope:SCOPE_SYS
.LBB0_2924:                             ;   Parent Loop BB0_2003 Depth=1
                                        ; =>  This Inner Loop Header: Depth=2
	global_load_b64 v[2:3], v0, s[4:5] scope:SCOPE_SYS
	s_wait_loadcnt 0x0
	v_cmp_ne_u64_e32 vcc_lo, s[10:11], v[2:3]
	s_cbranch_vccnz .LBB0_2924
; %bb.2925:                             ;   in Loop: Header=BB0_2003 Depth=1
	s_add_co_i32 s10, s8, 0x1cd
	s_mov_b32 s11, s9
	s_delay_alu instid0(SALU_CYCLE_1)
	v_mov_b64_e32 v[2:3], s[10:11]
	s_wait_xcnt 0x0
	global_store_b64 v0, v[2:3], s[6:7] scope:SCOPE_SYS
.LBB0_2926:                             ;   Parent Loop BB0_2003 Depth=1
                                        ; =>  This Inner Loop Header: Depth=2
	global_load_b64 v[2:3], v0, s[4:5] scope:SCOPE_SYS
	s_wait_loadcnt 0x0
	v_cmp_ne_u64_e32 vcc_lo, s[10:11], v[2:3]
	s_cbranch_vccnz .LBB0_2926
; %bb.2927:                             ;   in Loop: Header=BB0_2003 Depth=1
	s_add_co_i32 s10, s8, 0x1ce
	s_mov_b32 s11, s9
	s_delay_alu instid0(SALU_CYCLE_1)
	v_mov_b64_e32 v[2:3], s[10:11]
	s_wait_xcnt 0x0
	global_store_b64 v0, v[2:3], s[6:7] scope:SCOPE_SYS
.LBB0_2928:                             ;   Parent Loop BB0_2003 Depth=1
                                        ; =>  This Inner Loop Header: Depth=2
	global_load_b64 v[2:3], v0, s[4:5] scope:SCOPE_SYS
	s_wait_loadcnt 0x0
	v_cmp_ne_u64_e32 vcc_lo, s[10:11], v[2:3]
	s_cbranch_vccnz .LBB0_2928
; %bb.2929:                             ;   in Loop: Header=BB0_2003 Depth=1
	s_add_co_i32 s10, s8, 0x1cf
	s_mov_b32 s11, s9
	s_delay_alu instid0(SALU_CYCLE_1)
	v_mov_b64_e32 v[2:3], s[10:11]
	s_wait_xcnt 0x0
	global_store_b64 v0, v[2:3], s[6:7] scope:SCOPE_SYS
.LBB0_2930:                             ;   Parent Loop BB0_2003 Depth=1
                                        ; =>  This Inner Loop Header: Depth=2
	global_load_b64 v[2:3], v0, s[4:5] scope:SCOPE_SYS
	s_wait_loadcnt 0x0
	v_cmp_ne_u64_e32 vcc_lo, s[10:11], v[2:3]
	s_cbranch_vccnz .LBB0_2930
; %bb.2931:                             ;   in Loop: Header=BB0_2003 Depth=1
	s_add_co_i32 s10, s8, 0x1d0
	s_mov_b32 s11, s9
	s_delay_alu instid0(SALU_CYCLE_1)
	v_mov_b64_e32 v[2:3], s[10:11]
	s_wait_xcnt 0x0
	global_store_b64 v0, v[2:3], s[6:7] scope:SCOPE_SYS
.LBB0_2932:                             ;   Parent Loop BB0_2003 Depth=1
                                        ; =>  This Inner Loop Header: Depth=2
	global_load_b64 v[2:3], v0, s[4:5] scope:SCOPE_SYS
	s_wait_loadcnt 0x0
	v_cmp_ne_u64_e32 vcc_lo, s[10:11], v[2:3]
	s_cbranch_vccnz .LBB0_2932
; %bb.2933:                             ;   in Loop: Header=BB0_2003 Depth=1
	s_add_co_i32 s10, s8, 0x1d1
	s_mov_b32 s11, s9
	s_delay_alu instid0(SALU_CYCLE_1)
	v_mov_b64_e32 v[2:3], s[10:11]
	s_wait_xcnt 0x0
	global_store_b64 v0, v[2:3], s[6:7] scope:SCOPE_SYS
.LBB0_2934:                             ;   Parent Loop BB0_2003 Depth=1
                                        ; =>  This Inner Loop Header: Depth=2
	global_load_b64 v[2:3], v0, s[4:5] scope:SCOPE_SYS
	s_wait_loadcnt 0x0
	v_cmp_ne_u64_e32 vcc_lo, s[10:11], v[2:3]
	s_cbranch_vccnz .LBB0_2934
; %bb.2935:                             ;   in Loop: Header=BB0_2003 Depth=1
	s_add_co_i32 s10, s8, 0x1d2
	s_mov_b32 s11, s9
	s_delay_alu instid0(SALU_CYCLE_1)
	v_mov_b64_e32 v[2:3], s[10:11]
	s_wait_xcnt 0x0
	global_store_b64 v0, v[2:3], s[6:7] scope:SCOPE_SYS
.LBB0_2936:                             ;   Parent Loop BB0_2003 Depth=1
                                        ; =>  This Inner Loop Header: Depth=2
	global_load_b64 v[2:3], v0, s[4:5] scope:SCOPE_SYS
	s_wait_loadcnt 0x0
	v_cmp_ne_u64_e32 vcc_lo, s[10:11], v[2:3]
	s_cbranch_vccnz .LBB0_2936
; %bb.2937:                             ;   in Loop: Header=BB0_2003 Depth=1
	s_add_co_i32 s10, s8, 0x1d3
	s_mov_b32 s11, s9
	s_delay_alu instid0(SALU_CYCLE_1)
	v_mov_b64_e32 v[2:3], s[10:11]
	s_wait_xcnt 0x0
	global_store_b64 v0, v[2:3], s[6:7] scope:SCOPE_SYS
.LBB0_2938:                             ;   Parent Loop BB0_2003 Depth=1
                                        ; =>  This Inner Loop Header: Depth=2
	global_load_b64 v[2:3], v0, s[4:5] scope:SCOPE_SYS
	s_wait_loadcnt 0x0
	v_cmp_ne_u64_e32 vcc_lo, s[10:11], v[2:3]
	s_cbranch_vccnz .LBB0_2938
; %bb.2939:                             ;   in Loop: Header=BB0_2003 Depth=1
	s_add_co_i32 s10, s8, 0x1d4
	s_mov_b32 s11, s9
	s_delay_alu instid0(SALU_CYCLE_1)
	v_mov_b64_e32 v[2:3], s[10:11]
	s_wait_xcnt 0x0
	global_store_b64 v0, v[2:3], s[6:7] scope:SCOPE_SYS
.LBB0_2940:                             ;   Parent Loop BB0_2003 Depth=1
                                        ; =>  This Inner Loop Header: Depth=2
	global_load_b64 v[2:3], v0, s[4:5] scope:SCOPE_SYS
	s_wait_loadcnt 0x0
	v_cmp_ne_u64_e32 vcc_lo, s[10:11], v[2:3]
	s_cbranch_vccnz .LBB0_2940
; %bb.2941:                             ;   in Loop: Header=BB0_2003 Depth=1
	s_add_co_i32 s10, s8, 0x1d5
	s_mov_b32 s11, s9
	s_delay_alu instid0(SALU_CYCLE_1)
	v_mov_b64_e32 v[2:3], s[10:11]
	s_wait_xcnt 0x0
	global_store_b64 v0, v[2:3], s[6:7] scope:SCOPE_SYS
.LBB0_2942:                             ;   Parent Loop BB0_2003 Depth=1
                                        ; =>  This Inner Loop Header: Depth=2
	global_load_b64 v[2:3], v0, s[4:5] scope:SCOPE_SYS
	s_wait_loadcnt 0x0
	v_cmp_ne_u64_e32 vcc_lo, s[10:11], v[2:3]
	s_cbranch_vccnz .LBB0_2942
; %bb.2943:                             ;   in Loop: Header=BB0_2003 Depth=1
	s_add_co_i32 s10, s8, 0x1d6
	s_mov_b32 s11, s9
	s_delay_alu instid0(SALU_CYCLE_1)
	v_mov_b64_e32 v[2:3], s[10:11]
	s_wait_xcnt 0x0
	global_store_b64 v0, v[2:3], s[6:7] scope:SCOPE_SYS
.LBB0_2944:                             ;   Parent Loop BB0_2003 Depth=1
                                        ; =>  This Inner Loop Header: Depth=2
	global_load_b64 v[2:3], v0, s[4:5] scope:SCOPE_SYS
	s_wait_loadcnt 0x0
	v_cmp_ne_u64_e32 vcc_lo, s[10:11], v[2:3]
	s_cbranch_vccnz .LBB0_2944
; %bb.2945:                             ;   in Loop: Header=BB0_2003 Depth=1
	s_add_co_i32 s10, s8, 0x1d7
	s_mov_b32 s11, s9
	s_delay_alu instid0(SALU_CYCLE_1)
	v_mov_b64_e32 v[2:3], s[10:11]
	s_wait_xcnt 0x0
	global_store_b64 v0, v[2:3], s[6:7] scope:SCOPE_SYS
.LBB0_2946:                             ;   Parent Loop BB0_2003 Depth=1
                                        ; =>  This Inner Loop Header: Depth=2
	global_load_b64 v[2:3], v0, s[4:5] scope:SCOPE_SYS
	s_wait_loadcnt 0x0
	v_cmp_ne_u64_e32 vcc_lo, s[10:11], v[2:3]
	s_cbranch_vccnz .LBB0_2946
; %bb.2947:                             ;   in Loop: Header=BB0_2003 Depth=1
	s_add_co_i32 s10, s8, 0x1d8
	s_mov_b32 s11, s9
	s_delay_alu instid0(SALU_CYCLE_1)
	v_mov_b64_e32 v[2:3], s[10:11]
	s_wait_xcnt 0x0
	global_store_b64 v0, v[2:3], s[6:7] scope:SCOPE_SYS
.LBB0_2948:                             ;   Parent Loop BB0_2003 Depth=1
                                        ; =>  This Inner Loop Header: Depth=2
	global_load_b64 v[2:3], v0, s[4:5] scope:SCOPE_SYS
	s_wait_loadcnt 0x0
	v_cmp_ne_u64_e32 vcc_lo, s[10:11], v[2:3]
	s_cbranch_vccnz .LBB0_2948
; %bb.2949:                             ;   in Loop: Header=BB0_2003 Depth=1
	s_add_co_i32 s10, s8, 0x1d9
	s_mov_b32 s11, s9
	s_delay_alu instid0(SALU_CYCLE_1)
	v_mov_b64_e32 v[2:3], s[10:11]
	s_wait_xcnt 0x0
	global_store_b64 v0, v[2:3], s[6:7] scope:SCOPE_SYS
.LBB0_2950:                             ;   Parent Loop BB0_2003 Depth=1
                                        ; =>  This Inner Loop Header: Depth=2
	global_load_b64 v[2:3], v0, s[4:5] scope:SCOPE_SYS
	s_wait_loadcnt 0x0
	v_cmp_ne_u64_e32 vcc_lo, s[10:11], v[2:3]
	s_cbranch_vccnz .LBB0_2950
; %bb.2951:                             ;   in Loop: Header=BB0_2003 Depth=1
	s_add_co_i32 s10, s8, 0x1da
	s_mov_b32 s11, s9
	s_delay_alu instid0(SALU_CYCLE_1)
	v_mov_b64_e32 v[2:3], s[10:11]
	s_wait_xcnt 0x0
	global_store_b64 v0, v[2:3], s[6:7] scope:SCOPE_SYS
.LBB0_2952:                             ;   Parent Loop BB0_2003 Depth=1
                                        ; =>  This Inner Loop Header: Depth=2
	global_load_b64 v[2:3], v0, s[4:5] scope:SCOPE_SYS
	s_wait_loadcnt 0x0
	v_cmp_ne_u64_e32 vcc_lo, s[10:11], v[2:3]
	s_cbranch_vccnz .LBB0_2952
; %bb.2953:                             ;   in Loop: Header=BB0_2003 Depth=1
	s_add_co_i32 s10, s8, 0x1db
	s_mov_b32 s11, s9
	s_delay_alu instid0(SALU_CYCLE_1)
	v_mov_b64_e32 v[2:3], s[10:11]
	s_wait_xcnt 0x0
	global_store_b64 v0, v[2:3], s[6:7] scope:SCOPE_SYS
.LBB0_2954:                             ;   Parent Loop BB0_2003 Depth=1
                                        ; =>  This Inner Loop Header: Depth=2
	global_load_b64 v[2:3], v0, s[4:5] scope:SCOPE_SYS
	s_wait_loadcnt 0x0
	v_cmp_ne_u64_e32 vcc_lo, s[10:11], v[2:3]
	s_cbranch_vccnz .LBB0_2954
; %bb.2955:                             ;   in Loop: Header=BB0_2003 Depth=1
	s_add_co_i32 s10, s8, 0x1dc
	s_mov_b32 s11, s9
	s_delay_alu instid0(SALU_CYCLE_1)
	v_mov_b64_e32 v[2:3], s[10:11]
	s_wait_xcnt 0x0
	global_store_b64 v0, v[2:3], s[6:7] scope:SCOPE_SYS
.LBB0_2956:                             ;   Parent Loop BB0_2003 Depth=1
                                        ; =>  This Inner Loop Header: Depth=2
	global_load_b64 v[2:3], v0, s[4:5] scope:SCOPE_SYS
	s_wait_loadcnt 0x0
	v_cmp_ne_u64_e32 vcc_lo, s[10:11], v[2:3]
	s_cbranch_vccnz .LBB0_2956
; %bb.2957:                             ;   in Loop: Header=BB0_2003 Depth=1
	s_add_co_i32 s10, s8, 0x1dd
	s_mov_b32 s11, s9
	s_delay_alu instid0(SALU_CYCLE_1)
	v_mov_b64_e32 v[2:3], s[10:11]
	s_wait_xcnt 0x0
	global_store_b64 v0, v[2:3], s[6:7] scope:SCOPE_SYS
.LBB0_2958:                             ;   Parent Loop BB0_2003 Depth=1
                                        ; =>  This Inner Loop Header: Depth=2
	global_load_b64 v[2:3], v0, s[4:5] scope:SCOPE_SYS
	s_wait_loadcnt 0x0
	v_cmp_ne_u64_e32 vcc_lo, s[10:11], v[2:3]
	s_cbranch_vccnz .LBB0_2958
; %bb.2959:                             ;   in Loop: Header=BB0_2003 Depth=1
	s_add_co_i32 s10, s8, 0x1de
	s_mov_b32 s11, s9
	s_delay_alu instid0(SALU_CYCLE_1)
	v_mov_b64_e32 v[2:3], s[10:11]
	s_wait_xcnt 0x0
	global_store_b64 v0, v[2:3], s[6:7] scope:SCOPE_SYS
.LBB0_2960:                             ;   Parent Loop BB0_2003 Depth=1
                                        ; =>  This Inner Loop Header: Depth=2
	global_load_b64 v[2:3], v0, s[4:5] scope:SCOPE_SYS
	s_wait_loadcnt 0x0
	v_cmp_ne_u64_e32 vcc_lo, s[10:11], v[2:3]
	s_cbranch_vccnz .LBB0_2960
; %bb.2961:                             ;   in Loop: Header=BB0_2003 Depth=1
	s_add_co_i32 s10, s8, 0x1df
	s_mov_b32 s11, s9
	s_delay_alu instid0(SALU_CYCLE_1)
	v_mov_b64_e32 v[2:3], s[10:11]
	s_wait_xcnt 0x0
	global_store_b64 v0, v[2:3], s[6:7] scope:SCOPE_SYS
.LBB0_2962:                             ;   Parent Loop BB0_2003 Depth=1
                                        ; =>  This Inner Loop Header: Depth=2
	global_load_b64 v[2:3], v0, s[4:5] scope:SCOPE_SYS
	s_wait_loadcnt 0x0
	v_cmp_ne_u64_e32 vcc_lo, s[10:11], v[2:3]
	s_cbranch_vccnz .LBB0_2962
; %bb.2963:                             ;   in Loop: Header=BB0_2003 Depth=1
	s_add_co_i32 s10, s8, 0x1e0
	s_mov_b32 s11, s9
	s_delay_alu instid0(SALU_CYCLE_1)
	v_mov_b64_e32 v[2:3], s[10:11]
	s_wait_xcnt 0x0
	global_store_b64 v0, v[2:3], s[6:7] scope:SCOPE_SYS
.LBB0_2964:                             ;   Parent Loop BB0_2003 Depth=1
                                        ; =>  This Inner Loop Header: Depth=2
	global_load_b64 v[2:3], v0, s[4:5] scope:SCOPE_SYS
	s_wait_loadcnt 0x0
	v_cmp_ne_u64_e32 vcc_lo, s[10:11], v[2:3]
	s_cbranch_vccnz .LBB0_2964
; %bb.2965:                             ;   in Loop: Header=BB0_2003 Depth=1
	s_add_co_i32 s10, s8, 0x1e1
	s_mov_b32 s11, s9
	s_delay_alu instid0(SALU_CYCLE_1)
	v_mov_b64_e32 v[2:3], s[10:11]
	s_wait_xcnt 0x0
	global_store_b64 v0, v[2:3], s[6:7] scope:SCOPE_SYS
.LBB0_2966:                             ;   Parent Loop BB0_2003 Depth=1
                                        ; =>  This Inner Loop Header: Depth=2
	global_load_b64 v[2:3], v0, s[4:5] scope:SCOPE_SYS
	s_wait_loadcnt 0x0
	v_cmp_ne_u64_e32 vcc_lo, s[10:11], v[2:3]
	s_cbranch_vccnz .LBB0_2966
; %bb.2967:                             ;   in Loop: Header=BB0_2003 Depth=1
	s_add_co_i32 s10, s8, 0x1e2
	s_mov_b32 s11, s9
	s_delay_alu instid0(SALU_CYCLE_1)
	v_mov_b64_e32 v[2:3], s[10:11]
	s_wait_xcnt 0x0
	global_store_b64 v0, v[2:3], s[6:7] scope:SCOPE_SYS
.LBB0_2968:                             ;   Parent Loop BB0_2003 Depth=1
                                        ; =>  This Inner Loop Header: Depth=2
	global_load_b64 v[2:3], v0, s[4:5] scope:SCOPE_SYS
	s_wait_loadcnt 0x0
	v_cmp_ne_u64_e32 vcc_lo, s[10:11], v[2:3]
	s_cbranch_vccnz .LBB0_2968
; %bb.2969:                             ;   in Loop: Header=BB0_2003 Depth=1
	s_add_co_i32 s10, s8, 0x1e3
	s_mov_b32 s11, s9
	s_delay_alu instid0(SALU_CYCLE_1)
	v_mov_b64_e32 v[2:3], s[10:11]
	s_wait_xcnt 0x0
	global_store_b64 v0, v[2:3], s[6:7] scope:SCOPE_SYS
.LBB0_2970:                             ;   Parent Loop BB0_2003 Depth=1
                                        ; =>  This Inner Loop Header: Depth=2
	global_load_b64 v[2:3], v0, s[4:5] scope:SCOPE_SYS
	s_wait_loadcnt 0x0
	v_cmp_ne_u64_e32 vcc_lo, s[10:11], v[2:3]
	s_cbranch_vccnz .LBB0_2970
; %bb.2971:                             ;   in Loop: Header=BB0_2003 Depth=1
	s_add_co_i32 s10, s8, 0x1e4
	s_mov_b32 s11, s9
	s_delay_alu instid0(SALU_CYCLE_1)
	v_mov_b64_e32 v[2:3], s[10:11]
	s_wait_xcnt 0x0
	global_store_b64 v0, v[2:3], s[6:7] scope:SCOPE_SYS
.LBB0_2972:                             ;   Parent Loop BB0_2003 Depth=1
                                        ; =>  This Inner Loop Header: Depth=2
	global_load_b64 v[2:3], v0, s[4:5] scope:SCOPE_SYS
	s_wait_loadcnt 0x0
	v_cmp_ne_u64_e32 vcc_lo, s[10:11], v[2:3]
	s_cbranch_vccnz .LBB0_2972
; %bb.2973:                             ;   in Loop: Header=BB0_2003 Depth=1
	s_add_co_i32 s10, s8, 0x1e5
	s_mov_b32 s11, s9
	s_delay_alu instid0(SALU_CYCLE_1)
	v_mov_b64_e32 v[2:3], s[10:11]
	s_wait_xcnt 0x0
	global_store_b64 v0, v[2:3], s[6:7] scope:SCOPE_SYS
.LBB0_2974:                             ;   Parent Loop BB0_2003 Depth=1
                                        ; =>  This Inner Loop Header: Depth=2
	global_load_b64 v[2:3], v0, s[4:5] scope:SCOPE_SYS
	s_wait_loadcnt 0x0
	v_cmp_ne_u64_e32 vcc_lo, s[10:11], v[2:3]
	s_cbranch_vccnz .LBB0_2974
; %bb.2975:                             ;   in Loop: Header=BB0_2003 Depth=1
	s_add_co_i32 s10, s8, 0x1e6
	s_mov_b32 s11, s9
	s_delay_alu instid0(SALU_CYCLE_1)
	v_mov_b64_e32 v[2:3], s[10:11]
	s_wait_xcnt 0x0
	global_store_b64 v0, v[2:3], s[6:7] scope:SCOPE_SYS
.LBB0_2976:                             ;   Parent Loop BB0_2003 Depth=1
                                        ; =>  This Inner Loop Header: Depth=2
	global_load_b64 v[2:3], v0, s[4:5] scope:SCOPE_SYS
	s_wait_loadcnt 0x0
	v_cmp_ne_u64_e32 vcc_lo, s[10:11], v[2:3]
	s_cbranch_vccnz .LBB0_2976
; %bb.2977:                             ;   in Loop: Header=BB0_2003 Depth=1
	s_add_co_i32 s10, s8, 0x1e7
	s_mov_b32 s11, s9
	s_delay_alu instid0(SALU_CYCLE_1)
	v_mov_b64_e32 v[2:3], s[10:11]
	s_wait_xcnt 0x0
	global_store_b64 v0, v[2:3], s[6:7] scope:SCOPE_SYS
.LBB0_2978:                             ;   Parent Loop BB0_2003 Depth=1
                                        ; =>  This Inner Loop Header: Depth=2
	global_load_b64 v[2:3], v0, s[4:5] scope:SCOPE_SYS
	s_wait_loadcnt 0x0
	v_cmp_ne_u64_e32 vcc_lo, s[10:11], v[2:3]
	s_cbranch_vccnz .LBB0_2978
; %bb.2979:                             ;   in Loop: Header=BB0_2003 Depth=1
	s_add_co_i32 s10, s8, 0x1e8
	s_mov_b32 s11, s9
	s_delay_alu instid0(SALU_CYCLE_1)
	v_mov_b64_e32 v[2:3], s[10:11]
	s_wait_xcnt 0x0
	global_store_b64 v0, v[2:3], s[6:7] scope:SCOPE_SYS
.LBB0_2980:                             ;   Parent Loop BB0_2003 Depth=1
                                        ; =>  This Inner Loop Header: Depth=2
	global_load_b64 v[2:3], v0, s[4:5] scope:SCOPE_SYS
	s_wait_loadcnt 0x0
	v_cmp_ne_u64_e32 vcc_lo, s[10:11], v[2:3]
	s_cbranch_vccnz .LBB0_2980
; %bb.2981:                             ;   in Loop: Header=BB0_2003 Depth=1
	s_add_co_i32 s10, s8, 0x1e9
	s_mov_b32 s11, s9
	s_delay_alu instid0(SALU_CYCLE_1)
	v_mov_b64_e32 v[2:3], s[10:11]
	s_wait_xcnt 0x0
	global_store_b64 v0, v[2:3], s[6:7] scope:SCOPE_SYS
.LBB0_2982:                             ;   Parent Loop BB0_2003 Depth=1
                                        ; =>  This Inner Loop Header: Depth=2
	global_load_b64 v[2:3], v0, s[4:5] scope:SCOPE_SYS
	s_wait_loadcnt 0x0
	v_cmp_ne_u64_e32 vcc_lo, s[10:11], v[2:3]
	s_cbranch_vccnz .LBB0_2982
; %bb.2983:                             ;   in Loop: Header=BB0_2003 Depth=1
	s_add_co_i32 s10, s8, 0x1ea
	s_mov_b32 s11, s9
	s_delay_alu instid0(SALU_CYCLE_1)
	v_mov_b64_e32 v[2:3], s[10:11]
	s_wait_xcnt 0x0
	global_store_b64 v0, v[2:3], s[6:7] scope:SCOPE_SYS
.LBB0_2984:                             ;   Parent Loop BB0_2003 Depth=1
                                        ; =>  This Inner Loop Header: Depth=2
	global_load_b64 v[2:3], v0, s[4:5] scope:SCOPE_SYS
	s_wait_loadcnt 0x0
	v_cmp_ne_u64_e32 vcc_lo, s[10:11], v[2:3]
	s_cbranch_vccnz .LBB0_2984
; %bb.2985:                             ;   in Loop: Header=BB0_2003 Depth=1
	s_add_co_i32 s10, s8, 0x1eb
	s_mov_b32 s11, s9
	s_delay_alu instid0(SALU_CYCLE_1)
	v_mov_b64_e32 v[2:3], s[10:11]
	s_wait_xcnt 0x0
	global_store_b64 v0, v[2:3], s[6:7] scope:SCOPE_SYS
.LBB0_2986:                             ;   Parent Loop BB0_2003 Depth=1
                                        ; =>  This Inner Loop Header: Depth=2
	global_load_b64 v[2:3], v0, s[4:5] scope:SCOPE_SYS
	s_wait_loadcnt 0x0
	v_cmp_ne_u64_e32 vcc_lo, s[10:11], v[2:3]
	s_cbranch_vccnz .LBB0_2986
; %bb.2987:                             ;   in Loop: Header=BB0_2003 Depth=1
	s_add_co_i32 s10, s8, 0x1ec
	s_mov_b32 s11, s9
	s_delay_alu instid0(SALU_CYCLE_1)
	v_mov_b64_e32 v[2:3], s[10:11]
	s_wait_xcnt 0x0
	global_store_b64 v0, v[2:3], s[6:7] scope:SCOPE_SYS
.LBB0_2988:                             ;   Parent Loop BB0_2003 Depth=1
                                        ; =>  This Inner Loop Header: Depth=2
	global_load_b64 v[2:3], v0, s[4:5] scope:SCOPE_SYS
	s_wait_loadcnt 0x0
	v_cmp_ne_u64_e32 vcc_lo, s[10:11], v[2:3]
	s_cbranch_vccnz .LBB0_2988
; %bb.2989:                             ;   in Loop: Header=BB0_2003 Depth=1
	s_add_co_i32 s10, s8, 0x1ed
	s_mov_b32 s11, s9
	s_delay_alu instid0(SALU_CYCLE_1)
	v_mov_b64_e32 v[2:3], s[10:11]
	s_wait_xcnt 0x0
	global_store_b64 v0, v[2:3], s[6:7] scope:SCOPE_SYS
.LBB0_2990:                             ;   Parent Loop BB0_2003 Depth=1
                                        ; =>  This Inner Loop Header: Depth=2
	global_load_b64 v[2:3], v0, s[4:5] scope:SCOPE_SYS
	s_wait_loadcnt 0x0
	v_cmp_ne_u64_e32 vcc_lo, s[10:11], v[2:3]
	s_cbranch_vccnz .LBB0_2990
; %bb.2991:                             ;   in Loop: Header=BB0_2003 Depth=1
	s_add_co_i32 s10, s8, 0x1ee
	s_mov_b32 s11, s9
	s_delay_alu instid0(SALU_CYCLE_1)
	v_mov_b64_e32 v[2:3], s[10:11]
	s_wait_xcnt 0x0
	global_store_b64 v0, v[2:3], s[6:7] scope:SCOPE_SYS
.LBB0_2992:                             ;   Parent Loop BB0_2003 Depth=1
                                        ; =>  This Inner Loop Header: Depth=2
	global_load_b64 v[2:3], v0, s[4:5] scope:SCOPE_SYS
	s_wait_loadcnt 0x0
	v_cmp_ne_u64_e32 vcc_lo, s[10:11], v[2:3]
	s_cbranch_vccnz .LBB0_2992
; %bb.2993:                             ;   in Loop: Header=BB0_2003 Depth=1
	s_add_co_i32 s10, s8, 0x1ef
	s_mov_b32 s11, s9
	s_delay_alu instid0(SALU_CYCLE_1)
	v_mov_b64_e32 v[2:3], s[10:11]
	s_wait_xcnt 0x0
	global_store_b64 v0, v[2:3], s[6:7] scope:SCOPE_SYS
.LBB0_2994:                             ;   Parent Loop BB0_2003 Depth=1
                                        ; =>  This Inner Loop Header: Depth=2
	global_load_b64 v[2:3], v0, s[4:5] scope:SCOPE_SYS
	s_wait_loadcnt 0x0
	v_cmp_ne_u64_e32 vcc_lo, s[10:11], v[2:3]
	s_cbranch_vccnz .LBB0_2994
; %bb.2995:                             ;   in Loop: Header=BB0_2003 Depth=1
	s_add_co_i32 s10, s8, 0x1f0
	s_mov_b32 s11, s9
	s_delay_alu instid0(SALU_CYCLE_1)
	v_mov_b64_e32 v[2:3], s[10:11]
	s_wait_xcnt 0x0
	global_store_b64 v0, v[2:3], s[6:7] scope:SCOPE_SYS
.LBB0_2996:                             ;   Parent Loop BB0_2003 Depth=1
                                        ; =>  This Inner Loop Header: Depth=2
	global_load_b64 v[2:3], v0, s[4:5] scope:SCOPE_SYS
	s_wait_loadcnt 0x0
	v_cmp_ne_u64_e32 vcc_lo, s[10:11], v[2:3]
	s_cbranch_vccnz .LBB0_2996
; %bb.2997:                             ;   in Loop: Header=BB0_2003 Depth=1
	s_add_co_i32 s10, s8, 0x1f1
	s_mov_b32 s11, s9
	s_delay_alu instid0(SALU_CYCLE_1)
	v_mov_b64_e32 v[2:3], s[10:11]
	s_wait_xcnt 0x0
	global_store_b64 v0, v[2:3], s[6:7] scope:SCOPE_SYS
.LBB0_2998:                             ;   Parent Loop BB0_2003 Depth=1
                                        ; =>  This Inner Loop Header: Depth=2
	global_load_b64 v[2:3], v0, s[4:5] scope:SCOPE_SYS
	s_wait_loadcnt 0x0
	v_cmp_ne_u64_e32 vcc_lo, s[10:11], v[2:3]
	s_cbranch_vccnz .LBB0_2998
; %bb.2999:                             ;   in Loop: Header=BB0_2003 Depth=1
	s_add_co_i32 s10, s8, 0x1f2
	s_mov_b32 s11, s9
	s_delay_alu instid0(SALU_CYCLE_1)
	v_mov_b64_e32 v[2:3], s[10:11]
	s_wait_xcnt 0x0
	global_store_b64 v0, v[2:3], s[6:7] scope:SCOPE_SYS
.LBB0_3000:                             ;   Parent Loop BB0_2003 Depth=1
                                        ; =>  This Inner Loop Header: Depth=2
	global_load_b64 v[2:3], v0, s[4:5] scope:SCOPE_SYS
	s_wait_loadcnt 0x0
	v_cmp_ne_u64_e32 vcc_lo, s[10:11], v[2:3]
	s_cbranch_vccnz .LBB0_3000
; %bb.3001:                             ;   in Loop: Header=BB0_2003 Depth=1
	s_add_co_i32 s10, s8, 0x1f3
	s_mov_b32 s11, s9
	s_delay_alu instid0(SALU_CYCLE_1)
	v_mov_b64_e32 v[2:3], s[10:11]
	s_wait_xcnt 0x0
	global_store_b64 v0, v[2:3], s[6:7] scope:SCOPE_SYS
.LBB0_3002:                             ;   Parent Loop BB0_2003 Depth=1
                                        ; =>  This Inner Loop Header: Depth=2
	global_load_b64 v[2:3], v0, s[4:5] scope:SCOPE_SYS
	s_wait_loadcnt 0x0
	v_cmp_ne_u64_e32 vcc_lo, s[10:11], v[2:3]
	s_cbranch_vccnz .LBB0_3002
; %bb.3003:                             ;   in Loop: Header=BB0_2003 Depth=1
	s_add_co_i32 s10, s8, 0x1f4
	s_mov_b32 s11, s9
	s_delay_alu instid0(SALU_CYCLE_1)
	v_mov_b64_e32 v[2:3], s[10:11]
	s_wait_xcnt 0x0
	global_store_b64 v0, v[2:3], s[6:7] scope:SCOPE_SYS
.LBB0_3004:                             ;   Parent Loop BB0_2003 Depth=1
                                        ; =>  This Inner Loop Header: Depth=2
	global_load_b64 v[2:3], v0, s[4:5] scope:SCOPE_SYS
	s_wait_loadcnt 0x0
	v_cmp_ne_u64_e32 vcc_lo, s[10:11], v[2:3]
	s_cbranch_vccnz .LBB0_3004
; %bb.3005:                             ;   in Loop: Header=BB0_2003 Depth=1
	s_add_co_i32 s10, s8, 0x1f5
	s_mov_b32 s11, s9
	s_delay_alu instid0(SALU_CYCLE_1)
	v_mov_b64_e32 v[2:3], s[10:11]
	s_wait_xcnt 0x0
	global_store_b64 v0, v[2:3], s[6:7] scope:SCOPE_SYS
.LBB0_3006:                             ;   Parent Loop BB0_2003 Depth=1
                                        ; =>  This Inner Loop Header: Depth=2
	global_load_b64 v[2:3], v0, s[4:5] scope:SCOPE_SYS
	s_wait_loadcnt 0x0
	v_cmp_ne_u64_e32 vcc_lo, s[10:11], v[2:3]
	s_cbranch_vccnz .LBB0_3006
; %bb.3007:                             ;   in Loop: Header=BB0_2003 Depth=1
	s_add_co_i32 s10, s8, 0x1f6
	s_mov_b32 s11, s9
	s_delay_alu instid0(SALU_CYCLE_1)
	v_mov_b64_e32 v[2:3], s[10:11]
	s_wait_xcnt 0x0
	global_store_b64 v0, v[2:3], s[6:7] scope:SCOPE_SYS
.LBB0_3008:                             ;   Parent Loop BB0_2003 Depth=1
                                        ; =>  This Inner Loop Header: Depth=2
	global_load_b64 v[2:3], v0, s[4:5] scope:SCOPE_SYS
	s_wait_loadcnt 0x0
	v_cmp_ne_u64_e32 vcc_lo, s[10:11], v[2:3]
	s_cbranch_vccnz .LBB0_3008
; %bb.3009:                             ;   in Loop: Header=BB0_2003 Depth=1
	s_add_co_i32 s10, s8, 0x1f7
	s_mov_b32 s11, s9
	s_delay_alu instid0(SALU_CYCLE_1)
	v_mov_b64_e32 v[2:3], s[10:11]
	s_wait_xcnt 0x0
	global_store_b64 v0, v[2:3], s[6:7] scope:SCOPE_SYS
.LBB0_3010:                             ;   Parent Loop BB0_2003 Depth=1
                                        ; =>  This Inner Loop Header: Depth=2
	global_load_b64 v[2:3], v0, s[4:5] scope:SCOPE_SYS
	s_wait_loadcnt 0x0
	v_cmp_ne_u64_e32 vcc_lo, s[10:11], v[2:3]
	s_cbranch_vccnz .LBB0_3010
; %bb.3011:                             ;   in Loop: Header=BB0_2003 Depth=1
	s_add_co_i32 s10, s8, 0x1f8
	s_mov_b32 s11, s9
	s_delay_alu instid0(SALU_CYCLE_1)
	v_mov_b64_e32 v[2:3], s[10:11]
	s_wait_xcnt 0x0
	global_store_b64 v0, v[2:3], s[6:7] scope:SCOPE_SYS
.LBB0_3012:                             ;   Parent Loop BB0_2003 Depth=1
                                        ; =>  This Inner Loop Header: Depth=2
	global_load_b64 v[2:3], v0, s[4:5] scope:SCOPE_SYS
	s_wait_loadcnt 0x0
	v_cmp_ne_u64_e32 vcc_lo, s[10:11], v[2:3]
	s_cbranch_vccnz .LBB0_3012
; %bb.3013:                             ;   in Loop: Header=BB0_2003 Depth=1
	s_add_co_i32 s10, s8, 0x1f9
	s_mov_b32 s11, s9
	s_delay_alu instid0(SALU_CYCLE_1)
	v_mov_b64_e32 v[2:3], s[10:11]
	s_wait_xcnt 0x0
	global_store_b64 v0, v[2:3], s[6:7] scope:SCOPE_SYS
.LBB0_3014:                             ;   Parent Loop BB0_2003 Depth=1
                                        ; =>  This Inner Loop Header: Depth=2
	global_load_b64 v[2:3], v0, s[4:5] scope:SCOPE_SYS
	s_wait_loadcnt 0x0
	v_cmp_ne_u64_e32 vcc_lo, s[10:11], v[2:3]
	s_cbranch_vccnz .LBB0_3014
; %bb.3015:                             ;   in Loop: Header=BB0_2003 Depth=1
	s_add_co_i32 s10, s8, 0x1fa
	s_mov_b32 s11, s9
	s_delay_alu instid0(SALU_CYCLE_1)
	v_mov_b64_e32 v[2:3], s[10:11]
	s_wait_xcnt 0x0
	global_store_b64 v0, v[2:3], s[6:7] scope:SCOPE_SYS
.LBB0_3016:                             ;   Parent Loop BB0_2003 Depth=1
                                        ; =>  This Inner Loop Header: Depth=2
	global_load_b64 v[2:3], v0, s[4:5] scope:SCOPE_SYS
	s_wait_loadcnt 0x0
	v_cmp_ne_u64_e32 vcc_lo, s[10:11], v[2:3]
	s_cbranch_vccnz .LBB0_3016
; %bb.3017:                             ;   in Loop: Header=BB0_2003 Depth=1
	s_add_co_i32 s10, s8, 0x1fb
	s_mov_b32 s11, s9
	s_delay_alu instid0(SALU_CYCLE_1)
	v_mov_b64_e32 v[2:3], s[10:11]
	s_wait_xcnt 0x0
	global_store_b64 v0, v[2:3], s[6:7] scope:SCOPE_SYS
.LBB0_3018:                             ;   Parent Loop BB0_2003 Depth=1
                                        ; =>  This Inner Loop Header: Depth=2
	global_load_b64 v[2:3], v0, s[4:5] scope:SCOPE_SYS
	s_wait_loadcnt 0x0
	v_cmp_ne_u64_e32 vcc_lo, s[10:11], v[2:3]
	s_cbranch_vccnz .LBB0_3018
; %bb.3019:                             ;   in Loop: Header=BB0_2003 Depth=1
	s_add_co_i32 s10, s8, 0x1fc
	s_mov_b32 s11, s9
	s_delay_alu instid0(SALU_CYCLE_1)
	v_mov_b64_e32 v[2:3], s[10:11]
	s_wait_xcnt 0x0
	global_store_b64 v0, v[2:3], s[6:7] scope:SCOPE_SYS
.LBB0_3020:                             ;   Parent Loop BB0_2003 Depth=1
                                        ; =>  This Inner Loop Header: Depth=2
	global_load_b64 v[2:3], v0, s[4:5] scope:SCOPE_SYS
	s_wait_loadcnt 0x0
	v_cmp_ne_u64_e32 vcc_lo, s[10:11], v[2:3]
	s_cbranch_vccnz .LBB0_3020
; %bb.3021:                             ;   in Loop: Header=BB0_2003 Depth=1
	s_add_co_i32 s10, s8, 0x1fd
	s_mov_b32 s11, s9
	s_delay_alu instid0(SALU_CYCLE_1)
	v_mov_b64_e32 v[2:3], s[10:11]
	s_wait_xcnt 0x0
	global_store_b64 v0, v[2:3], s[6:7] scope:SCOPE_SYS
.LBB0_3022:                             ;   Parent Loop BB0_2003 Depth=1
                                        ; =>  This Inner Loop Header: Depth=2
	global_load_b64 v[2:3], v0, s[4:5] scope:SCOPE_SYS
	s_wait_loadcnt 0x0
	v_cmp_ne_u64_e32 vcc_lo, s[10:11], v[2:3]
	s_cbranch_vccnz .LBB0_3022
; %bb.3023:                             ;   in Loop: Header=BB0_2003 Depth=1
	s_add_co_i32 s10, s8, 0x1fe
	s_mov_b32 s11, s9
	s_delay_alu instid0(SALU_CYCLE_1)
	v_mov_b64_e32 v[2:3], s[10:11]
	s_wait_xcnt 0x0
	global_store_b64 v0, v[2:3], s[6:7] scope:SCOPE_SYS
.LBB0_3024:                             ;   Parent Loop BB0_2003 Depth=1
                                        ; =>  This Inner Loop Header: Depth=2
	global_load_b64 v[2:3], v0, s[4:5] scope:SCOPE_SYS
	s_wait_loadcnt 0x0
	v_cmp_ne_u64_e32 vcc_lo, s[10:11], v[2:3]
	s_cbranch_vccnz .LBB0_3024
; %bb.3025:                             ;   in Loop: Header=BB0_2003 Depth=1
	s_add_co_i32 s10, s8, 0x1ff
	s_mov_b32 s11, s9
	s_delay_alu instid0(SALU_CYCLE_1)
	v_mov_b64_e32 v[2:3], s[10:11]
	s_wait_xcnt 0x0
	global_store_b64 v0, v[2:3], s[6:7] scope:SCOPE_SYS
.LBB0_3026:                             ;   Parent Loop BB0_2003 Depth=1
                                        ; =>  This Inner Loop Header: Depth=2
	global_load_b64 v[2:3], v0, s[4:5] scope:SCOPE_SYS
	s_wait_loadcnt 0x0
	v_cmp_ne_u64_e32 vcc_lo, s[10:11], v[2:3]
	s_cbranch_vccnz .LBB0_3026
; %bb.3027:                             ;   in Loop: Header=BB0_2003 Depth=1
	s_add_co_i32 s10, s8, 0x200
	s_mov_b32 s11, s9
	s_delay_alu instid0(SALU_CYCLE_1)
	v_mov_b64_e32 v[2:3], s[10:11]
	s_wait_xcnt 0x0
	global_store_b64 v0, v[2:3], s[6:7] scope:SCOPE_SYS
.LBB0_3028:                             ;   Parent Loop BB0_2003 Depth=1
                                        ; =>  This Inner Loop Header: Depth=2
	global_load_b64 v[2:3], v0, s[4:5] scope:SCOPE_SYS
	s_wait_loadcnt 0x0
	v_cmp_ne_u64_e32 vcc_lo, s[10:11], v[2:3]
	s_cbranch_vccnz .LBB0_3028
; %bb.3029:                             ;   in Loop: Header=BB0_2003 Depth=1
	s_add_co_i32 s10, s8, 0x201
	s_mov_b32 s11, s9
	s_delay_alu instid0(SALU_CYCLE_1)
	v_mov_b64_e32 v[2:3], s[10:11]
	s_wait_xcnt 0x0
	global_store_b64 v0, v[2:3], s[6:7] scope:SCOPE_SYS
.LBB0_3030:                             ;   Parent Loop BB0_2003 Depth=1
                                        ; =>  This Inner Loop Header: Depth=2
	global_load_b64 v[2:3], v0, s[4:5] scope:SCOPE_SYS
	s_wait_loadcnt 0x0
	v_cmp_ne_u64_e32 vcc_lo, s[10:11], v[2:3]
	s_cbranch_vccnz .LBB0_3030
; %bb.3031:                             ;   in Loop: Header=BB0_2003 Depth=1
	s_add_co_i32 s10, s8, 0x202
	s_mov_b32 s11, s9
	s_delay_alu instid0(SALU_CYCLE_1)
	v_mov_b64_e32 v[2:3], s[10:11]
	s_wait_xcnt 0x0
	global_store_b64 v0, v[2:3], s[6:7] scope:SCOPE_SYS
.LBB0_3032:                             ;   Parent Loop BB0_2003 Depth=1
                                        ; =>  This Inner Loop Header: Depth=2
	global_load_b64 v[2:3], v0, s[4:5] scope:SCOPE_SYS
	s_wait_loadcnt 0x0
	v_cmp_ne_u64_e32 vcc_lo, s[10:11], v[2:3]
	s_cbranch_vccnz .LBB0_3032
; %bb.3033:                             ;   in Loop: Header=BB0_2003 Depth=1
	s_add_co_i32 s10, s8, 0x203
	s_mov_b32 s11, s9
	s_delay_alu instid0(SALU_CYCLE_1)
	v_mov_b64_e32 v[2:3], s[10:11]
	s_wait_xcnt 0x0
	global_store_b64 v0, v[2:3], s[6:7] scope:SCOPE_SYS
.LBB0_3034:                             ;   Parent Loop BB0_2003 Depth=1
                                        ; =>  This Inner Loop Header: Depth=2
	global_load_b64 v[2:3], v0, s[4:5] scope:SCOPE_SYS
	s_wait_loadcnt 0x0
	v_cmp_ne_u64_e32 vcc_lo, s[10:11], v[2:3]
	s_cbranch_vccnz .LBB0_3034
; %bb.3035:                             ;   in Loop: Header=BB0_2003 Depth=1
	s_add_co_i32 s10, s8, 0x204
	s_mov_b32 s11, s9
	s_delay_alu instid0(SALU_CYCLE_1)
	v_mov_b64_e32 v[2:3], s[10:11]
	s_wait_xcnt 0x0
	global_store_b64 v0, v[2:3], s[6:7] scope:SCOPE_SYS
.LBB0_3036:                             ;   Parent Loop BB0_2003 Depth=1
                                        ; =>  This Inner Loop Header: Depth=2
	global_load_b64 v[2:3], v0, s[4:5] scope:SCOPE_SYS
	s_wait_loadcnt 0x0
	v_cmp_ne_u64_e32 vcc_lo, s[10:11], v[2:3]
	s_cbranch_vccnz .LBB0_3036
; %bb.3037:                             ;   in Loop: Header=BB0_2003 Depth=1
	s_add_co_i32 s10, s8, 0x205
	s_mov_b32 s11, s9
	s_delay_alu instid0(SALU_CYCLE_1)
	v_mov_b64_e32 v[2:3], s[10:11]
	s_wait_xcnt 0x0
	global_store_b64 v0, v[2:3], s[6:7] scope:SCOPE_SYS
.LBB0_3038:                             ;   Parent Loop BB0_2003 Depth=1
                                        ; =>  This Inner Loop Header: Depth=2
	global_load_b64 v[2:3], v0, s[4:5] scope:SCOPE_SYS
	s_wait_loadcnt 0x0
	v_cmp_ne_u64_e32 vcc_lo, s[10:11], v[2:3]
	s_cbranch_vccnz .LBB0_3038
; %bb.3039:                             ;   in Loop: Header=BB0_2003 Depth=1
	s_add_co_i32 s10, s8, 0x206
	s_mov_b32 s11, s9
	s_delay_alu instid0(SALU_CYCLE_1)
	v_mov_b64_e32 v[2:3], s[10:11]
	s_wait_xcnt 0x0
	global_store_b64 v0, v[2:3], s[6:7] scope:SCOPE_SYS
.LBB0_3040:                             ;   Parent Loop BB0_2003 Depth=1
                                        ; =>  This Inner Loop Header: Depth=2
	global_load_b64 v[2:3], v0, s[4:5] scope:SCOPE_SYS
	s_wait_loadcnt 0x0
	v_cmp_ne_u64_e32 vcc_lo, s[10:11], v[2:3]
	s_cbranch_vccnz .LBB0_3040
; %bb.3041:                             ;   in Loop: Header=BB0_2003 Depth=1
	s_add_co_i32 s10, s8, 0x207
	s_mov_b32 s11, s9
	s_delay_alu instid0(SALU_CYCLE_1)
	v_mov_b64_e32 v[2:3], s[10:11]
	s_wait_xcnt 0x0
	global_store_b64 v0, v[2:3], s[6:7] scope:SCOPE_SYS
.LBB0_3042:                             ;   Parent Loop BB0_2003 Depth=1
                                        ; =>  This Inner Loop Header: Depth=2
	global_load_b64 v[2:3], v0, s[4:5] scope:SCOPE_SYS
	s_wait_loadcnt 0x0
	v_cmp_ne_u64_e32 vcc_lo, s[10:11], v[2:3]
	s_cbranch_vccnz .LBB0_3042
; %bb.3043:                             ;   in Loop: Header=BB0_2003 Depth=1
	s_add_co_i32 s10, s8, 0x208
	s_mov_b32 s11, s9
	s_delay_alu instid0(SALU_CYCLE_1)
	v_mov_b64_e32 v[2:3], s[10:11]
	s_wait_xcnt 0x0
	global_store_b64 v0, v[2:3], s[6:7] scope:SCOPE_SYS
.LBB0_3044:                             ;   Parent Loop BB0_2003 Depth=1
                                        ; =>  This Inner Loop Header: Depth=2
	global_load_b64 v[2:3], v0, s[4:5] scope:SCOPE_SYS
	s_wait_loadcnt 0x0
	v_cmp_ne_u64_e32 vcc_lo, s[10:11], v[2:3]
	s_cbranch_vccnz .LBB0_3044
; %bb.3045:                             ;   in Loop: Header=BB0_2003 Depth=1
	s_add_co_i32 s10, s8, 0x209
	s_mov_b32 s11, s9
	s_delay_alu instid0(SALU_CYCLE_1)
	v_mov_b64_e32 v[2:3], s[10:11]
	s_wait_xcnt 0x0
	global_store_b64 v0, v[2:3], s[6:7] scope:SCOPE_SYS
.LBB0_3046:                             ;   Parent Loop BB0_2003 Depth=1
                                        ; =>  This Inner Loop Header: Depth=2
	global_load_b64 v[2:3], v0, s[4:5] scope:SCOPE_SYS
	s_wait_loadcnt 0x0
	v_cmp_ne_u64_e32 vcc_lo, s[10:11], v[2:3]
	s_cbranch_vccnz .LBB0_3046
; %bb.3047:                             ;   in Loop: Header=BB0_2003 Depth=1
	s_add_co_i32 s10, s8, 0x20a
	s_mov_b32 s11, s9
	s_delay_alu instid0(SALU_CYCLE_1)
	v_mov_b64_e32 v[2:3], s[10:11]
	s_wait_xcnt 0x0
	global_store_b64 v0, v[2:3], s[6:7] scope:SCOPE_SYS
.LBB0_3048:                             ;   Parent Loop BB0_2003 Depth=1
                                        ; =>  This Inner Loop Header: Depth=2
	global_load_b64 v[2:3], v0, s[4:5] scope:SCOPE_SYS
	s_wait_loadcnt 0x0
	v_cmp_ne_u64_e32 vcc_lo, s[10:11], v[2:3]
	s_cbranch_vccnz .LBB0_3048
; %bb.3049:                             ;   in Loop: Header=BB0_2003 Depth=1
	s_add_co_i32 s10, s8, 0x20b
	s_mov_b32 s11, s9
	s_delay_alu instid0(SALU_CYCLE_1)
	v_mov_b64_e32 v[2:3], s[10:11]
	s_wait_xcnt 0x0
	global_store_b64 v0, v[2:3], s[6:7] scope:SCOPE_SYS
.LBB0_3050:                             ;   Parent Loop BB0_2003 Depth=1
                                        ; =>  This Inner Loop Header: Depth=2
	global_load_b64 v[2:3], v0, s[4:5] scope:SCOPE_SYS
	s_wait_loadcnt 0x0
	v_cmp_ne_u64_e32 vcc_lo, s[10:11], v[2:3]
	s_cbranch_vccnz .LBB0_3050
; %bb.3051:                             ;   in Loop: Header=BB0_2003 Depth=1
	s_add_co_i32 s10, s8, 0x20c
	s_mov_b32 s11, s9
	s_delay_alu instid0(SALU_CYCLE_1)
	v_mov_b64_e32 v[2:3], s[10:11]
	s_wait_xcnt 0x0
	global_store_b64 v0, v[2:3], s[6:7] scope:SCOPE_SYS
.LBB0_3052:                             ;   Parent Loop BB0_2003 Depth=1
                                        ; =>  This Inner Loop Header: Depth=2
	global_load_b64 v[2:3], v0, s[4:5] scope:SCOPE_SYS
	s_wait_loadcnt 0x0
	v_cmp_ne_u64_e32 vcc_lo, s[10:11], v[2:3]
	s_cbranch_vccnz .LBB0_3052
; %bb.3053:                             ;   in Loop: Header=BB0_2003 Depth=1
	s_add_co_i32 s10, s8, 0x20d
	s_mov_b32 s11, s9
	s_delay_alu instid0(SALU_CYCLE_1)
	v_mov_b64_e32 v[2:3], s[10:11]
	s_wait_xcnt 0x0
	global_store_b64 v0, v[2:3], s[6:7] scope:SCOPE_SYS
.LBB0_3054:                             ;   Parent Loop BB0_2003 Depth=1
                                        ; =>  This Inner Loop Header: Depth=2
	global_load_b64 v[2:3], v0, s[4:5] scope:SCOPE_SYS
	s_wait_loadcnt 0x0
	v_cmp_ne_u64_e32 vcc_lo, s[10:11], v[2:3]
	s_cbranch_vccnz .LBB0_3054
; %bb.3055:                             ;   in Loop: Header=BB0_2003 Depth=1
	s_add_co_i32 s10, s8, 0x20e
	s_mov_b32 s11, s9
	s_delay_alu instid0(SALU_CYCLE_1)
	v_mov_b64_e32 v[2:3], s[10:11]
	s_wait_xcnt 0x0
	global_store_b64 v0, v[2:3], s[6:7] scope:SCOPE_SYS
.LBB0_3056:                             ;   Parent Loop BB0_2003 Depth=1
                                        ; =>  This Inner Loop Header: Depth=2
	global_load_b64 v[2:3], v0, s[4:5] scope:SCOPE_SYS
	s_wait_loadcnt 0x0
	v_cmp_ne_u64_e32 vcc_lo, s[10:11], v[2:3]
	s_cbranch_vccnz .LBB0_3056
; %bb.3057:                             ;   in Loop: Header=BB0_2003 Depth=1
	s_add_co_i32 s10, s8, 0x20f
	s_mov_b32 s11, s9
	s_delay_alu instid0(SALU_CYCLE_1)
	v_mov_b64_e32 v[2:3], s[10:11]
	s_wait_xcnt 0x0
	global_store_b64 v0, v[2:3], s[6:7] scope:SCOPE_SYS
.LBB0_3058:                             ;   Parent Loop BB0_2003 Depth=1
                                        ; =>  This Inner Loop Header: Depth=2
	global_load_b64 v[2:3], v0, s[4:5] scope:SCOPE_SYS
	s_wait_loadcnt 0x0
	v_cmp_ne_u64_e32 vcc_lo, s[10:11], v[2:3]
	s_cbranch_vccnz .LBB0_3058
; %bb.3059:                             ;   in Loop: Header=BB0_2003 Depth=1
	s_add_co_i32 s10, s8, 0x210
	s_mov_b32 s11, s9
	s_delay_alu instid0(SALU_CYCLE_1)
	v_mov_b64_e32 v[2:3], s[10:11]
	s_wait_xcnt 0x0
	global_store_b64 v0, v[2:3], s[6:7] scope:SCOPE_SYS
.LBB0_3060:                             ;   Parent Loop BB0_2003 Depth=1
                                        ; =>  This Inner Loop Header: Depth=2
	global_load_b64 v[2:3], v0, s[4:5] scope:SCOPE_SYS
	s_wait_loadcnt 0x0
	v_cmp_ne_u64_e32 vcc_lo, s[10:11], v[2:3]
	s_cbranch_vccnz .LBB0_3060
; %bb.3061:                             ;   in Loop: Header=BB0_2003 Depth=1
	s_add_co_i32 s10, s8, 0x211
	s_mov_b32 s11, s9
	s_delay_alu instid0(SALU_CYCLE_1)
	v_mov_b64_e32 v[2:3], s[10:11]
	s_wait_xcnt 0x0
	global_store_b64 v0, v[2:3], s[6:7] scope:SCOPE_SYS
.LBB0_3062:                             ;   Parent Loop BB0_2003 Depth=1
                                        ; =>  This Inner Loop Header: Depth=2
	global_load_b64 v[2:3], v0, s[4:5] scope:SCOPE_SYS
	s_wait_loadcnt 0x0
	v_cmp_ne_u64_e32 vcc_lo, s[10:11], v[2:3]
	s_cbranch_vccnz .LBB0_3062
; %bb.3063:                             ;   in Loop: Header=BB0_2003 Depth=1
	s_add_co_i32 s10, s8, 0x212
	s_mov_b32 s11, s9
	s_delay_alu instid0(SALU_CYCLE_1)
	v_mov_b64_e32 v[2:3], s[10:11]
	s_wait_xcnt 0x0
	global_store_b64 v0, v[2:3], s[6:7] scope:SCOPE_SYS
.LBB0_3064:                             ;   Parent Loop BB0_2003 Depth=1
                                        ; =>  This Inner Loop Header: Depth=2
	global_load_b64 v[2:3], v0, s[4:5] scope:SCOPE_SYS
	s_wait_loadcnt 0x0
	v_cmp_ne_u64_e32 vcc_lo, s[10:11], v[2:3]
	s_cbranch_vccnz .LBB0_3064
; %bb.3065:                             ;   in Loop: Header=BB0_2003 Depth=1
	s_add_co_i32 s10, s8, 0x213
	s_mov_b32 s11, s9
	s_delay_alu instid0(SALU_CYCLE_1)
	v_mov_b64_e32 v[2:3], s[10:11]
	s_wait_xcnt 0x0
	global_store_b64 v0, v[2:3], s[6:7] scope:SCOPE_SYS
.LBB0_3066:                             ;   Parent Loop BB0_2003 Depth=1
                                        ; =>  This Inner Loop Header: Depth=2
	global_load_b64 v[2:3], v0, s[4:5] scope:SCOPE_SYS
	s_wait_loadcnt 0x0
	v_cmp_ne_u64_e32 vcc_lo, s[10:11], v[2:3]
	s_cbranch_vccnz .LBB0_3066
; %bb.3067:                             ;   in Loop: Header=BB0_2003 Depth=1
	s_add_co_i32 s10, s8, 0x214
	s_mov_b32 s11, s9
	s_delay_alu instid0(SALU_CYCLE_1)
	v_mov_b64_e32 v[2:3], s[10:11]
	s_wait_xcnt 0x0
	global_store_b64 v0, v[2:3], s[6:7] scope:SCOPE_SYS
.LBB0_3068:                             ;   Parent Loop BB0_2003 Depth=1
                                        ; =>  This Inner Loop Header: Depth=2
	global_load_b64 v[2:3], v0, s[4:5] scope:SCOPE_SYS
	s_wait_loadcnt 0x0
	v_cmp_ne_u64_e32 vcc_lo, s[10:11], v[2:3]
	s_cbranch_vccnz .LBB0_3068
; %bb.3069:                             ;   in Loop: Header=BB0_2003 Depth=1
	s_add_co_i32 s10, s8, 0x215
	s_mov_b32 s11, s9
	s_delay_alu instid0(SALU_CYCLE_1)
	v_mov_b64_e32 v[2:3], s[10:11]
	s_wait_xcnt 0x0
	global_store_b64 v0, v[2:3], s[6:7] scope:SCOPE_SYS
.LBB0_3070:                             ;   Parent Loop BB0_2003 Depth=1
                                        ; =>  This Inner Loop Header: Depth=2
	global_load_b64 v[2:3], v0, s[4:5] scope:SCOPE_SYS
	s_wait_loadcnt 0x0
	v_cmp_ne_u64_e32 vcc_lo, s[10:11], v[2:3]
	s_cbranch_vccnz .LBB0_3070
; %bb.3071:                             ;   in Loop: Header=BB0_2003 Depth=1
	s_add_co_i32 s10, s8, 0x216
	s_mov_b32 s11, s9
	s_delay_alu instid0(SALU_CYCLE_1)
	v_mov_b64_e32 v[2:3], s[10:11]
	s_wait_xcnt 0x0
	global_store_b64 v0, v[2:3], s[6:7] scope:SCOPE_SYS
.LBB0_3072:                             ;   Parent Loop BB0_2003 Depth=1
                                        ; =>  This Inner Loop Header: Depth=2
	global_load_b64 v[2:3], v0, s[4:5] scope:SCOPE_SYS
	s_wait_loadcnt 0x0
	v_cmp_ne_u64_e32 vcc_lo, s[10:11], v[2:3]
	s_cbranch_vccnz .LBB0_3072
; %bb.3073:                             ;   in Loop: Header=BB0_2003 Depth=1
	s_add_co_i32 s10, s8, 0x217
	s_mov_b32 s11, s9
	s_delay_alu instid0(SALU_CYCLE_1)
	v_mov_b64_e32 v[2:3], s[10:11]
	s_wait_xcnt 0x0
	global_store_b64 v0, v[2:3], s[6:7] scope:SCOPE_SYS
.LBB0_3074:                             ;   Parent Loop BB0_2003 Depth=1
                                        ; =>  This Inner Loop Header: Depth=2
	global_load_b64 v[2:3], v0, s[4:5] scope:SCOPE_SYS
	s_wait_loadcnt 0x0
	v_cmp_ne_u64_e32 vcc_lo, s[10:11], v[2:3]
	s_cbranch_vccnz .LBB0_3074
; %bb.3075:                             ;   in Loop: Header=BB0_2003 Depth=1
	s_add_co_i32 s10, s8, 0x218
	s_mov_b32 s11, s9
	s_delay_alu instid0(SALU_CYCLE_1)
	v_mov_b64_e32 v[2:3], s[10:11]
	s_wait_xcnt 0x0
	global_store_b64 v0, v[2:3], s[6:7] scope:SCOPE_SYS
.LBB0_3076:                             ;   Parent Loop BB0_2003 Depth=1
                                        ; =>  This Inner Loop Header: Depth=2
	global_load_b64 v[2:3], v0, s[4:5] scope:SCOPE_SYS
	s_wait_loadcnt 0x0
	v_cmp_ne_u64_e32 vcc_lo, s[10:11], v[2:3]
	s_cbranch_vccnz .LBB0_3076
; %bb.3077:                             ;   in Loop: Header=BB0_2003 Depth=1
	s_add_co_i32 s10, s8, 0x219
	s_mov_b32 s11, s9
	s_delay_alu instid0(SALU_CYCLE_1)
	v_mov_b64_e32 v[2:3], s[10:11]
	s_wait_xcnt 0x0
	global_store_b64 v0, v[2:3], s[6:7] scope:SCOPE_SYS
.LBB0_3078:                             ;   Parent Loop BB0_2003 Depth=1
                                        ; =>  This Inner Loop Header: Depth=2
	global_load_b64 v[2:3], v0, s[4:5] scope:SCOPE_SYS
	s_wait_loadcnt 0x0
	v_cmp_ne_u64_e32 vcc_lo, s[10:11], v[2:3]
	s_cbranch_vccnz .LBB0_3078
; %bb.3079:                             ;   in Loop: Header=BB0_2003 Depth=1
	s_add_co_i32 s10, s8, 0x21a
	s_mov_b32 s11, s9
	s_delay_alu instid0(SALU_CYCLE_1)
	v_mov_b64_e32 v[2:3], s[10:11]
	s_wait_xcnt 0x0
	global_store_b64 v0, v[2:3], s[6:7] scope:SCOPE_SYS
.LBB0_3080:                             ;   Parent Loop BB0_2003 Depth=1
                                        ; =>  This Inner Loop Header: Depth=2
	global_load_b64 v[2:3], v0, s[4:5] scope:SCOPE_SYS
	s_wait_loadcnt 0x0
	v_cmp_ne_u64_e32 vcc_lo, s[10:11], v[2:3]
	s_cbranch_vccnz .LBB0_3080
; %bb.3081:                             ;   in Loop: Header=BB0_2003 Depth=1
	s_add_co_i32 s10, s8, 0x21b
	s_mov_b32 s11, s9
	s_delay_alu instid0(SALU_CYCLE_1)
	v_mov_b64_e32 v[2:3], s[10:11]
	s_wait_xcnt 0x0
	global_store_b64 v0, v[2:3], s[6:7] scope:SCOPE_SYS
.LBB0_3082:                             ;   Parent Loop BB0_2003 Depth=1
                                        ; =>  This Inner Loop Header: Depth=2
	global_load_b64 v[2:3], v0, s[4:5] scope:SCOPE_SYS
	s_wait_loadcnt 0x0
	v_cmp_ne_u64_e32 vcc_lo, s[10:11], v[2:3]
	s_cbranch_vccnz .LBB0_3082
; %bb.3083:                             ;   in Loop: Header=BB0_2003 Depth=1
	s_add_co_i32 s10, s8, 0x21c
	s_mov_b32 s11, s9
	s_delay_alu instid0(SALU_CYCLE_1)
	v_mov_b64_e32 v[2:3], s[10:11]
	s_wait_xcnt 0x0
	global_store_b64 v0, v[2:3], s[6:7] scope:SCOPE_SYS
.LBB0_3084:                             ;   Parent Loop BB0_2003 Depth=1
                                        ; =>  This Inner Loop Header: Depth=2
	global_load_b64 v[2:3], v0, s[4:5] scope:SCOPE_SYS
	s_wait_loadcnt 0x0
	v_cmp_ne_u64_e32 vcc_lo, s[10:11], v[2:3]
	s_cbranch_vccnz .LBB0_3084
; %bb.3085:                             ;   in Loop: Header=BB0_2003 Depth=1
	s_add_co_i32 s10, s8, 0x21d
	s_mov_b32 s11, s9
	s_delay_alu instid0(SALU_CYCLE_1)
	v_mov_b64_e32 v[2:3], s[10:11]
	s_wait_xcnt 0x0
	global_store_b64 v0, v[2:3], s[6:7] scope:SCOPE_SYS
.LBB0_3086:                             ;   Parent Loop BB0_2003 Depth=1
                                        ; =>  This Inner Loop Header: Depth=2
	global_load_b64 v[2:3], v0, s[4:5] scope:SCOPE_SYS
	s_wait_loadcnt 0x0
	v_cmp_ne_u64_e32 vcc_lo, s[10:11], v[2:3]
	s_cbranch_vccnz .LBB0_3086
; %bb.3087:                             ;   in Loop: Header=BB0_2003 Depth=1
	s_add_co_i32 s10, s8, 0x21e
	s_mov_b32 s11, s9
	s_delay_alu instid0(SALU_CYCLE_1)
	v_mov_b64_e32 v[2:3], s[10:11]
	s_wait_xcnt 0x0
	global_store_b64 v0, v[2:3], s[6:7] scope:SCOPE_SYS
.LBB0_3088:                             ;   Parent Loop BB0_2003 Depth=1
                                        ; =>  This Inner Loop Header: Depth=2
	global_load_b64 v[2:3], v0, s[4:5] scope:SCOPE_SYS
	s_wait_loadcnt 0x0
	v_cmp_ne_u64_e32 vcc_lo, s[10:11], v[2:3]
	s_cbranch_vccnz .LBB0_3088
; %bb.3089:                             ;   in Loop: Header=BB0_2003 Depth=1
	s_add_co_i32 s10, s8, 0x21f
	s_mov_b32 s11, s9
	s_delay_alu instid0(SALU_CYCLE_1)
	v_mov_b64_e32 v[2:3], s[10:11]
	s_wait_xcnt 0x0
	global_store_b64 v0, v[2:3], s[6:7] scope:SCOPE_SYS
.LBB0_3090:                             ;   Parent Loop BB0_2003 Depth=1
                                        ; =>  This Inner Loop Header: Depth=2
	global_load_b64 v[2:3], v0, s[4:5] scope:SCOPE_SYS
	s_wait_loadcnt 0x0
	v_cmp_ne_u64_e32 vcc_lo, s[10:11], v[2:3]
	s_cbranch_vccnz .LBB0_3090
; %bb.3091:                             ;   in Loop: Header=BB0_2003 Depth=1
	s_add_co_i32 s10, s8, 0x220
	s_mov_b32 s11, s9
	s_delay_alu instid0(SALU_CYCLE_1)
	v_mov_b64_e32 v[2:3], s[10:11]
	s_wait_xcnt 0x0
	global_store_b64 v0, v[2:3], s[6:7] scope:SCOPE_SYS
.LBB0_3092:                             ;   Parent Loop BB0_2003 Depth=1
                                        ; =>  This Inner Loop Header: Depth=2
	global_load_b64 v[2:3], v0, s[4:5] scope:SCOPE_SYS
	s_wait_loadcnt 0x0
	v_cmp_ne_u64_e32 vcc_lo, s[10:11], v[2:3]
	s_cbranch_vccnz .LBB0_3092
; %bb.3093:                             ;   in Loop: Header=BB0_2003 Depth=1
	s_add_co_i32 s10, s8, 0x221
	s_mov_b32 s11, s9
	s_delay_alu instid0(SALU_CYCLE_1)
	v_mov_b64_e32 v[2:3], s[10:11]
	s_wait_xcnt 0x0
	global_store_b64 v0, v[2:3], s[6:7] scope:SCOPE_SYS
.LBB0_3094:                             ;   Parent Loop BB0_2003 Depth=1
                                        ; =>  This Inner Loop Header: Depth=2
	global_load_b64 v[2:3], v0, s[4:5] scope:SCOPE_SYS
	s_wait_loadcnt 0x0
	v_cmp_ne_u64_e32 vcc_lo, s[10:11], v[2:3]
	s_cbranch_vccnz .LBB0_3094
; %bb.3095:                             ;   in Loop: Header=BB0_2003 Depth=1
	s_add_co_i32 s10, s8, 0x222
	s_mov_b32 s11, s9
	s_delay_alu instid0(SALU_CYCLE_1)
	v_mov_b64_e32 v[2:3], s[10:11]
	s_wait_xcnt 0x0
	global_store_b64 v0, v[2:3], s[6:7] scope:SCOPE_SYS
.LBB0_3096:                             ;   Parent Loop BB0_2003 Depth=1
                                        ; =>  This Inner Loop Header: Depth=2
	global_load_b64 v[2:3], v0, s[4:5] scope:SCOPE_SYS
	s_wait_loadcnt 0x0
	v_cmp_ne_u64_e32 vcc_lo, s[10:11], v[2:3]
	s_cbranch_vccnz .LBB0_3096
; %bb.3097:                             ;   in Loop: Header=BB0_2003 Depth=1
	s_add_co_i32 s10, s8, 0x223
	s_mov_b32 s11, s9
	s_delay_alu instid0(SALU_CYCLE_1)
	v_mov_b64_e32 v[2:3], s[10:11]
	s_wait_xcnt 0x0
	global_store_b64 v0, v[2:3], s[6:7] scope:SCOPE_SYS
.LBB0_3098:                             ;   Parent Loop BB0_2003 Depth=1
                                        ; =>  This Inner Loop Header: Depth=2
	global_load_b64 v[2:3], v0, s[4:5] scope:SCOPE_SYS
	s_wait_loadcnt 0x0
	v_cmp_ne_u64_e32 vcc_lo, s[10:11], v[2:3]
	s_cbranch_vccnz .LBB0_3098
; %bb.3099:                             ;   in Loop: Header=BB0_2003 Depth=1
	s_add_co_i32 s10, s8, 0x224
	s_mov_b32 s11, s9
	s_delay_alu instid0(SALU_CYCLE_1)
	v_mov_b64_e32 v[2:3], s[10:11]
	s_wait_xcnt 0x0
	global_store_b64 v0, v[2:3], s[6:7] scope:SCOPE_SYS
.LBB0_3100:                             ;   Parent Loop BB0_2003 Depth=1
                                        ; =>  This Inner Loop Header: Depth=2
	global_load_b64 v[2:3], v0, s[4:5] scope:SCOPE_SYS
	s_wait_loadcnt 0x0
	v_cmp_ne_u64_e32 vcc_lo, s[10:11], v[2:3]
	s_cbranch_vccnz .LBB0_3100
; %bb.3101:                             ;   in Loop: Header=BB0_2003 Depth=1
	s_add_co_i32 s10, s8, 0x225
	s_mov_b32 s11, s9
	s_delay_alu instid0(SALU_CYCLE_1)
	v_mov_b64_e32 v[2:3], s[10:11]
	s_wait_xcnt 0x0
	global_store_b64 v0, v[2:3], s[6:7] scope:SCOPE_SYS
.LBB0_3102:                             ;   Parent Loop BB0_2003 Depth=1
                                        ; =>  This Inner Loop Header: Depth=2
	global_load_b64 v[2:3], v0, s[4:5] scope:SCOPE_SYS
	s_wait_loadcnt 0x0
	v_cmp_ne_u64_e32 vcc_lo, s[10:11], v[2:3]
	s_cbranch_vccnz .LBB0_3102
; %bb.3103:                             ;   in Loop: Header=BB0_2003 Depth=1
	s_add_co_i32 s10, s8, 0x226
	s_mov_b32 s11, s9
	s_delay_alu instid0(SALU_CYCLE_1)
	v_mov_b64_e32 v[2:3], s[10:11]
	s_wait_xcnt 0x0
	global_store_b64 v0, v[2:3], s[6:7] scope:SCOPE_SYS
.LBB0_3104:                             ;   Parent Loop BB0_2003 Depth=1
                                        ; =>  This Inner Loop Header: Depth=2
	global_load_b64 v[2:3], v0, s[4:5] scope:SCOPE_SYS
	s_wait_loadcnt 0x0
	v_cmp_ne_u64_e32 vcc_lo, s[10:11], v[2:3]
	s_cbranch_vccnz .LBB0_3104
; %bb.3105:                             ;   in Loop: Header=BB0_2003 Depth=1
	s_add_co_i32 s10, s8, 0x227
	s_mov_b32 s11, s9
	s_delay_alu instid0(SALU_CYCLE_1)
	v_mov_b64_e32 v[2:3], s[10:11]
	s_wait_xcnt 0x0
	global_store_b64 v0, v[2:3], s[6:7] scope:SCOPE_SYS
.LBB0_3106:                             ;   Parent Loop BB0_2003 Depth=1
                                        ; =>  This Inner Loop Header: Depth=2
	global_load_b64 v[2:3], v0, s[4:5] scope:SCOPE_SYS
	s_wait_loadcnt 0x0
	v_cmp_ne_u64_e32 vcc_lo, s[10:11], v[2:3]
	s_cbranch_vccnz .LBB0_3106
; %bb.3107:                             ;   in Loop: Header=BB0_2003 Depth=1
	s_add_co_i32 s10, s8, 0x228
	s_mov_b32 s11, s9
	s_delay_alu instid0(SALU_CYCLE_1)
	v_mov_b64_e32 v[2:3], s[10:11]
	s_wait_xcnt 0x0
	global_store_b64 v0, v[2:3], s[6:7] scope:SCOPE_SYS
.LBB0_3108:                             ;   Parent Loop BB0_2003 Depth=1
                                        ; =>  This Inner Loop Header: Depth=2
	global_load_b64 v[2:3], v0, s[4:5] scope:SCOPE_SYS
	s_wait_loadcnt 0x0
	v_cmp_ne_u64_e32 vcc_lo, s[10:11], v[2:3]
	s_cbranch_vccnz .LBB0_3108
; %bb.3109:                             ;   in Loop: Header=BB0_2003 Depth=1
	s_add_co_i32 s10, s8, 0x229
	s_mov_b32 s11, s9
	s_delay_alu instid0(SALU_CYCLE_1)
	v_mov_b64_e32 v[2:3], s[10:11]
	s_wait_xcnt 0x0
	global_store_b64 v0, v[2:3], s[6:7] scope:SCOPE_SYS
.LBB0_3110:                             ;   Parent Loop BB0_2003 Depth=1
                                        ; =>  This Inner Loop Header: Depth=2
	global_load_b64 v[2:3], v0, s[4:5] scope:SCOPE_SYS
	s_wait_loadcnt 0x0
	v_cmp_ne_u64_e32 vcc_lo, s[10:11], v[2:3]
	s_cbranch_vccnz .LBB0_3110
; %bb.3111:                             ;   in Loop: Header=BB0_2003 Depth=1
	s_add_co_i32 s10, s8, 0x22a
	s_mov_b32 s11, s9
	s_delay_alu instid0(SALU_CYCLE_1)
	v_mov_b64_e32 v[2:3], s[10:11]
	s_wait_xcnt 0x0
	global_store_b64 v0, v[2:3], s[6:7] scope:SCOPE_SYS
.LBB0_3112:                             ;   Parent Loop BB0_2003 Depth=1
                                        ; =>  This Inner Loop Header: Depth=2
	global_load_b64 v[2:3], v0, s[4:5] scope:SCOPE_SYS
	s_wait_loadcnt 0x0
	v_cmp_ne_u64_e32 vcc_lo, s[10:11], v[2:3]
	s_cbranch_vccnz .LBB0_3112
; %bb.3113:                             ;   in Loop: Header=BB0_2003 Depth=1
	s_add_co_i32 s10, s8, 0x22b
	s_mov_b32 s11, s9
	s_delay_alu instid0(SALU_CYCLE_1)
	v_mov_b64_e32 v[2:3], s[10:11]
	s_wait_xcnt 0x0
	global_store_b64 v0, v[2:3], s[6:7] scope:SCOPE_SYS
.LBB0_3114:                             ;   Parent Loop BB0_2003 Depth=1
                                        ; =>  This Inner Loop Header: Depth=2
	global_load_b64 v[2:3], v0, s[4:5] scope:SCOPE_SYS
	s_wait_loadcnt 0x0
	v_cmp_ne_u64_e32 vcc_lo, s[10:11], v[2:3]
	s_cbranch_vccnz .LBB0_3114
; %bb.3115:                             ;   in Loop: Header=BB0_2003 Depth=1
	s_add_co_i32 s10, s8, 0x22c
	s_mov_b32 s11, s9
	s_delay_alu instid0(SALU_CYCLE_1)
	v_mov_b64_e32 v[2:3], s[10:11]
	s_wait_xcnt 0x0
	global_store_b64 v0, v[2:3], s[6:7] scope:SCOPE_SYS
.LBB0_3116:                             ;   Parent Loop BB0_2003 Depth=1
                                        ; =>  This Inner Loop Header: Depth=2
	global_load_b64 v[2:3], v0, s[4:5] scope:SCOPE_SYS
	s_wait_loadcnt 0x0
	v_cmp_ne_u64_e32 vcc_lo, s[10:11], v[2:3]
	s_cbranch_vccnz .LBB0_3116
; %bb.3117:                             ;   in Loop: Header=BB0_2003 Depth=1
	s_add_co_i32 s10, s8, 0x22d
	s_mov_b32 s11, s9
	s_delay_alu instid0(SALU_CYCLE_1)
	v_mov_b64_e32 v[2:3], s[10:11]
	s_wait_xcnt 0x0
	global_store_b64 v0, v[2:3], s[6:7] scope:SCOPE_SYS
.LBB0_3118:                             ;   Parent Loop BB0_2003 Depth=1
                                        ; =>  This Inner Loop Header: Depth=2
	global_load_b64 v[2:3], v0, s[4:5] scope:SCOPE_SYS
	s_wait_loadcnt 0x0
	v_cmp_ne_u64_e32 vcc_lo, s[10:11], v[2:3]
	s_cbranch_vccnz .LBB0_3118
; %bb.3119:                             ;   in Loop: Header=BB0_2003 Depth=1
	s_add_co_i32 s10, s8, 0x22e
	s_mov_b32 s11, s9
	s_delay_alu instid0(SALU_CYCLE_1)
	v_mov_b64_e32 v[2:3], s[10:11]
	s_wait_xcnt 0x0
	global_store_b64 v0, v[2:3], s[6:7] scope:SCOPE_SYS
.LBB0_3120:                             ;   Parent Loop BB0_2003 Depth=1
                                        ; =>  This Inner Loop Header: Depth=2
	global_load_b64 v[2:3], v0, s[4:5] scope:SCOPE_SYS
	s_wait_loadcnt 0x0
	v_cmp_ne_u64_e32 vcc_lo, s[10:11], v[2:3]
	s_cbranch_vccnz .LBB0_3120
; %bb.3121:                             ;   in Loop: Header=BB0_2003 Depth=1
	s_add_co_i32 s10, s8, 0x22f
	s_mov_b32 s11, s9
	s_delay_alu instid0(SALU_CYCLE_1)
	v_mov_b64_e32 v[2:3], s[10:11]
	s_wait_xcnt 0x0
	global_store_b64 v0, v[2:3], s[6:7] scope:SCOPE_SYS
.LBB0_3122:                             ;   Parent Loop BB0_2003 Depth=1
                                        ; =>  This Inner Loop Header: Depth=2
	global_load_b64 v[2:3], v0, s[4:5] scope:SCOPE_SYS
	s_wait_loadcnt 0x0
	v_cmp_ne_u64_e32 vcc_lo, s[10:11], v[2:3]
	s_cbranch_vccnz .LBB0_3122
; %bb.3123:                             ;   in Loop: Header=BB0_2003 Depth=1
	s_add_co_i32 s10, s8, 0x230
	s_mov_b32 s11, s9
	s_delay_alu instid0(SALU_CYCLE_1)
	v_mov_b64_e32 v[2:3], s[10:11]
	s_wait_xcnt 0x0
	global_store_b64 v0, v[2:3], s[6:7] scope:SCOPE_SYS
.LBB0_3124:                             ;   Parent Loop BB0_2003 Depth=1
                                        ; =>  This Inner Loop Header: Depth=2
	global_load_b64 v[2:3], v0, s[4:5] scope:SCOPE_SYS
	s_wait_loadcnt 0x0
	v_cmp_ne_u64_e32 vcc_lo, s[10:11], v[2:3]
	s_cbranch_vccnz .LBB0_3124
; %bb.3125:                             ;   in Loop: Header=BB0_2003 Depth=1
	s_add_co_i32 s10, s8, 0x231
	s_mov_b32 s11, s9
	s_delay_alu instid0(SALU_CYCLE_1)
	v_mov_b64_e32 v[2:3], s[10:11]
	s_wait_xcnt 0x0
	global_store_b64 v0, v[2:3], s[6:7] scope:SCOPE_SYS
.LBB0_3126:                             ;   Parent Loop BB0_2003 Depth=1
                                        ; =>  This Inner Loop Header: Depth=2
	global_load_b64 v[2:3], v0, s[4:5] scope:SCOPE_SYS
	s_wait_loadcnt 0x0
	v_cmp_ne_u64_e32 vcc_lo, s[10:11], v[2:3]
	s_cbranch_vccnz .LBB0_3126
; %bb.3127:                             ;   in Loop: Header=BB0_2003 Depth=1
	s_add_co_i32 s10, s8, 0x232
	s_mov_b32 s11, s9
	s_delay_alu instid0(SALU_CYCLE_1)
	v_mov_b64_e32 v[2:3], s[10:11]
	s_wait_xcnt 0x0
	global_store_b64 v0, v[2:3], s[6:7] scope:SCOPE_SYS
.LBB0_3128:                             ;   Parent Loop BB0_2003 Depth=1
                                        ; =>  This Inner Loop Header: Depth=2
	global_load_b64 v[2:3], v0, s[4:5] scope:SCOPE_SYS
	s_wait_loadcnt 0x0
	v_cmp_ne_u64_e32 vcc_lo, s[10:11], v[2:3]
	s_cbranch_vccnz .LBB0_3128
; %bb.3129:                             ;   in Loop: Header=BB0_2003 Depth=1
	s_add_co_i32 s10, s8, 0x233
	s_mov_b32 s11, s9
	s_delay_alu instid0(SALU_CYCLE_1)
	v_mov_b64_e32 v[2:3], s[10:11]
	s_wait_xcnt 0x0
	global_store_b64 v0, v[2:3], s[6:7] scope:SCOPE_SYS
.LBB0_3130:                             ;   Parent Loop BB0_2003 Depth=1
                                        ; =>  This Inner Loop Header: Depth=2
	global_load_b64 v[2:3], v0, s[4:5] scope:SCOPE_SYS
	s_wait_loadcnt 0x0
	v_cmp_ne_u64_e32 vcc_lo, s[10:11], v[2:3]
	s_cbranch_vccnz .LBB0_3130
; %bb.3131:                             ;   in Loop: Header=BB0_2003 Depth=1
	s_add_co_i32 s10, s8, 0x234
	s_mov_b32 s11, s9
	s_delay_alu instid0(SALU_CYCLE_1)
	v_mov_b64_e32 v[2:3], s[10:11]
	s_wait_xcnt 0x0
	global_store_b64 v0, v[2:3], s[6:7] scope:SCOPE_SYS
.LBB0_3132:                             ;   Parent Loop BB0_2003 Depth=1
                                        ; =>  This Inner Loop Header: Depth=2
	global_load_b64 v[2:3], v0, s[4:5] scope:SCOPE_SYS
	s_wait_loadcnt 0x0
	v_cmp_ne_u64_e32 vcc_lo, s[10:11], v[2:3]
	s_cbranch_vccnz .LBB0_3132
; %bb.3133:                             ;   in Loop: Header=BB0_2003 Depth=1
	s_add_co_i32 s10, s8, 0x235
	s_mov_b32 s11, s9
	s_delay_alu instid0(SALU_CYCLE_1)
	v_mov_b64_e32 v[2:3], s[10:11]
	s_wait_xcnt 0x0
	global_store_b64 v0, v[2:3], s[6:7] scope:SCOPE_SYS
.LBB0_3134:                             ;   Parent Loop BB0_2003 Depth=1
                                        ; =>  This Inner Loop Header: Depth=2
	global_load_b64 v[2:3], v0, s[4:5] scope:SCOPE_SYS
	s_wait_loadcnt 0x0
	v_cmp_ne_u64_e32 vcc_lo, s[10:11], v[2:3]
	s_cbranch_vccnz .LBB0_3134
; %bb.3135:                             ;   in Loop: Header=BB0_2003 Depth=1
	s_add_co_i32 s10, s8, 0x236
	s_mov_b32 s11, s9
	s_delay_alu instid0(SALU_CYCLE_1)
	v_mov_b64_e32 v[2:3], s[10:11]
	s_wait_xcnt 0x0
	global_store_b64 v0, v[2:3], s[6:7] scope:SCOPE_SYS
.LBB0_3136:                             ;   Parent Loop BB0_2003 Depth=1
                                        ; =>  This Inner Loop Header: Depth=2
	global_load_b64 v[2:3], v0, s[4:5] scope:SCOPE_SYS
	s_wait_loadcnt 0x0
	v_cmp_ne_u64_e32 vcc_lo, s[10:11], v[2:3]
	s_cbranch_vccnz .LBB0_3136
; %bb.3137:                             ;   in Loop: Header=BB0_2003 Depth=1
	s_add_co_i32 s10, s8, 0x237
	s_mov_b32 s11, s9
	s_delay_alu instid0(SALU_CYCLE_1)
	v_mov_b64_e32 v[2:3], s[10:11]
	s_wait_xcnt 0x0
	global_store_b64 v0, v[2:3], s[6:7] scope:SCOPE_SYS
.LBB0_3138:                             ;   Parent Loop BB0_2003 Depth=1
                                        ; =>  This Inner Loop Header: Depth=2
	global_load_b64 v[2:3], v0, s[4:5] scope:SCOPE_SYS
	s_wait_loadcnt 0x0
	v_cmp_ne_u64_e32 vcc_lo, s[10:11], v[2:3]
	s_cbranch_vccnz .LBB0_3138
; %bb.3139:                             ;   in Loop: Header=BB0_2003 Depth=1
	s_add_co_i32 s10, s8, 0x238
	s_mov_b32 s11, s9
	s_delay_alu instid0(SALU_CYCLE_1)
	v_mov_b64_e32 v[2:3], s[10:11]
	s_wait_xcnt 0x0
	global_store_b64 v0, v[2:3], s[6:7] scope:SCOPE_SYS
.LBB0_3140:                             ;   Parent Loop BB0_2003 Depth=1
                                        ; =>  This Inner Loop Header: Depth=2
	global_load_b64 v[2:3], v0, s[4:5] scope:SCOPE_SYS
	s_wait_loadcnt 0x0
	v_cmp_ne_u64_e32 vcc_lo, s[10:11], v[2:3]
	s_cbranch_vccnz .LBB0_3140
; %bb.3141:                             ;   in Loop: Header=BB0_2003 Depth=1
	s_add_co_i32 s10, s8, 0x239
	s_mov_b32 s11, s9
	s_delay_alu instid0(SALU_CYCLE_1)
	v_mov_b64_e32 v[2:3], s[10:11]
	s_wait_xcnt 0x0
	global_store_b64 v0, v[2:3], s[6:7] scope:SCOPE_SYS
.LBB0_3142:                             ;   Parent Loop BB0_2003 Depth=1
                                        ; =>  This Inner Loop Header: Depth=2
	global_load_b64 v[2:3], v0, s[4:5] scope:SCOPE_SYS
	s_wait_loadcnt 0x0
	v_cmp_ne_u64_e32 vcc_lo, s[10:11], v[2:3]
	s_cbranch_vccnz .LBB0_3142
; %bb.3143:                             ;   in Loop: Header=BB0_2003 Depth=1
	s_add_co_i32 s10, s8, 0x23a
	s_mov_b32 s11, s9
	s_delay_alu instid0(SALU_CYCLE_1)
	v_mov_b64_e32 v[2:3], s[10:11]
	s_wait_xcnt 0x0
	global_store_b64 v0, v[2:3], s[6:7] scope:SCOPE_SYS
.LBB0_3144:                             ;   Parent Loop BB0_2003 Depth=1
                                        ; =>  This Inner Loop Header: Depth=2
	global_load_b64 v[2:3], v0, s[4:5] scope:SCOPE_SYS
	s_wait_loadcnt 0x0
	v_cmp_ne_u64_e32 vcc_lo, s[10:11], v[2:3]
	s_cbranch_vccnz .LBB0_3144
; %bb.3145:                             ;   in Loop: Header=BB0_2003 Depth=1
	s_add_co_i32 s10, s8, 0x23b
	s_mov_b32 s11, s9
	s_delay_alu instid0(SALU_CYCLE_1)
	v_mov_b64_e32 v[2:3], s[10:11]
	s_wait_xcnt 0x0
	global_store_b64 v0, v[2:3], s[6:7] scope:SCOPE_SYS
.LBB0_3146:                             ;   Parent Loop BB0_2003 Depth=1
                                        ; =>  This Inner Loop Header: Depth=2
	global_load_b64 v[2:3], v0, s[4:5] scope:SCOPE_SYS
	s_wait_loadcnt 0x0
	v_cmp_ne_u64_e32 vcc_lo, s[10:11], v[2:3]
	s_cbranch_vccnz .LBB0_3146
; %bb.3147:                             ;   in Loop: Header=BB0_2003 Depth=1
	s_add_co_i32 s10, s8, 0x23c
	s_mov_b32 s11, s9
	s_delay_alu instid0(SALU_CYCLE_1)
	v_mov_b64_e32 v[2:3], s[10:11]
	s_wait_xcnt 0x0
	global_store_b64 v0, v[2:3], s[6:7] scope:SCOPE_SYS
.LBB0_3148:                             ;   Parent Loop BB0_2003 Depth=1
                                        ; =>  This Inner Loop Header: Depth=2
	global_load_b64 v[2:3], v0, s[4:5] scope:SCOPE_SYS
	s_wait_loadcnt 0x0
	v_cmp_ne_u64_e32 vcc_lo, s[10:11], v[2:3]
	s_cbranch_vccnz .LBB0_3148
; %bb.3149:                             ;   in Loop: Header=BB0_2003 Depth=1
	s_add_co_i32 s10, s8, 0x23d
	s_mov_b32 s11, s9
	s_delay_alu instid0(SALU_CYCLE_1)
	v_mov_b64_e32 v[2:3], s[10:11]
	s_wait_xcnt 0x0
	global_store_b64 v0, v[2:3], s[6:7] scope:SCOPE_SYS
.LBB0_3150:                             ;   Parent Loop BB0_2003 Depth=1
                                        ; =>  This Inner Loop Header: Depth=2
	global_load_b64 v[2:3], v0, s[4:5] scope:SCOPE_SYS
	s_wait_loadcnt 0x0
	v_cmp_ne_u64_e32 vcc_lo, s[10:11], v[2:3]
	s_cbranch_vccnz .LBB0_3150
; %bb.3151:                             ;   in Loop: Header=BB0_2003 Depth=1
	s_add_co_i32 s10, s8, 0x23e
	s_mov_b32 s11, s9
	s_delay_alu instid0(SALU_CYCLE_1)
	v_mov_b64_e32 v[2:3], s[10:11]
	s_wait_xcnt 0x0
	global_store_b64 v0, v[2:3], s[6:7] scope:SCOPE_SYS
.LBB0_3152:                             ;   Parent Loop BB0_2003 Depth=1
                                        ; =>  This Inner Loop Header: Depth=2
	global_load_b64 v[2:3], v0, s[4:5] scope:SCOPE_SYS
	s_wait_loadcnt 0x0
	v_cmp_ne_u64_e32 vcc_lo, s[10:11], v[2:3]
	s_cbranch_vccnz .LBB0_3152
; %bb.3153:                             ;   in Loop: Header=BB0_2003 Depth=1
	s_add_co_i32 s10, s8, 0x23f
	s_mov_b32 s11, s9
	s_delay_alu instid0(SALU_CYCLE_1)
	v_mov_b64_e32 v[2:3], s[10:11]
	s_wait_xcnt 0x0
	global_store_b64 v0, v[2:3], s[6:7] scope:SCOPE_SYS
.LBB0_3154:                             ;   Parent Loop BB0_2003 Depth=1
                                        ; =>  This Inner Loop Header: Depth=2
	global_load_b64 v[2:3], v0, s[4:5] scope:SCOPE_SYS
	s_wait_loadcnt 0x0
	v_cmp_ne_u64_e32 vcc_lo, s[10:11], v[2:3]
	s_cbranch_vccnz .LBB0_3154
; %bb.3155:                             ;   in Loop: Header=BB0_2003 Depth=1
	s_add_co_i32 s10, s8, 0x240
	s_mov_b32 s11, s9
	s_delay_alu instid0(SALU_CYCLE_1)
	v_mov_b64_e32 v[2:3], s[10:11]
	s_wait_xcnt 0x0
	global_store_b64 v0, v[2:3], s[6:7] scope:SCOPE_SYS
.LBB0_3156:                             ;   Parent Loop BB0_2003 Depth=1
                                        ; =>  This Inner Loop Header: Depth=2
	global_load_b64 v[2:3], v0, s[4:5] scope:SCOPE_SYS
	s_wait_loadcnt 0x0
	v_cmp_ne_u64_e32 vcc_lo, s[10:11], v[2:3]
	s_cbranch_vccnz .LBB0_3156
; %bb.3157:                             ;   in Loop: Header=BB0_2003 Depth=1
	s_add_co_i32 s10, s8, 0x241
	s_mov_b32 s11, s9
	s_delay_alu instid0(SALU_CYCLE_1)
	v_mov_b64_e32 v[2:3], s[10:11]
	s_wait_xcnt 0x0
	global_store_b64 v0, v[2:3], s[6:7] scope:SCOPE_SYS
.LBB0_3158:                             ;   Parent Loop BB0_2003 Depth=1
                                        ; =>  This Inner Loop Header: Depth=2
	global_load_b64 v[2:3], v0, s[4:5] scope:SCOPE_SYS
	s_wait_loadcnt 0x0
	v_cmp_ne_u64_e32 vcc_lo, s[10:11], v[2:3]
	s_cbranch_vccnz .LBB0_3158
; %bb.3159:                             ;   in Loop: Header=BB0_2003 Depth=1
	s_add_co_i32 s10, s8, 0x242
	s_mov_b32 s11, s9
	s_delay_alu instid0(SALU_CYCLE_1)
	v_mov_b64_e32 v[2:3], s[10:11]
	s_wait_xcnt 0x0
	global_store_b64 v0, v[2:3], s[6:7] scope:SCOPE_SYS
.LBB0_3160:                             ;   Parent Loop BB0_2003 Depth=1
                                        ; =>  This Inner Loop Header: Depth=2
	global_load_b64 v[2:3], v0, s[4:5] scope:SCOPE_SYS
	s_wait_loadcnt 0x0
	v_cmp_ne_u64_e32 vcc_lo, s[10:11], v[2:3]
	s_cbranch_vccnz .LBB0_3160
; %bb.3161:                             ;   in Loop: Header=BB0_2003 Depth=1
	s_add_co_i32 s10, s8, 0x243
	s_mov_b32 s11, s9
	s_delay_alu instid0(SALU_CYCLE_1)
	v_mov_b64_e32 v[2:3], s[10:11]
	s_wait_xcnt 0x0
	global_store_b64 v0, v[2:3], s[6:7] scope:SCOPE_SYS
.LBB0_3162:                             ;   Parent Loop BB0_2003 Depth=1
                                        ; =>  This Inner Loop Header: Depth=2
	global_load_b64 v[2:3], v0, s[4:5] scope:SCOPE_SYS
	s_wait_loadcnt 0x0
	v_cmp_ne_u64_e32 vcc_lo, s[10:11], v[2:3]
	s_cbranch_vccnz .LBB0_3162
; %bb.3163:                             ;   in Loop: Header=BB0_2003 Depth=1
	s_add_co_i32 s10, s8, 0x244
	s_mov_b32 s11, s9
	s_delay_alu instid0(SALU_CYCLE_1)
	v_mov_b64_e32 v[2:3], s[10:11]
	s_wait_xcnt 0x0
	global_store_b64 v0, v[2:3], s[6:7] scope:SCOPE_SYS
.LBB0_3164:                             ;   Parent Loop BB0_2003 Depth=1
                                        ; =>  This Inner Loop Header: Depth=2
	global_load_b64 v[2:3], v0, s[4:5] scope:SCOPE_SYS
	s_wait_loadcnt 0x0
	v_cmp_ne_u64_e32 vcc_lo, s[10:11], v[2:3]
	s_cbranch_vccnz .LBB0_3164
; %bb.3165:                             ;   in Loop: Header=BB0_2003 Depth=1
	s_add_co_i32 s10, s8, 0x245
	s_mov_b32 s11, s9
	s_delay_alu instid0(SALU_CYCLE_1)
	v_mov_b64_e32 v[2:3], s[10:11]
	s_wait_xcnt 0x0
	global_store_b64 v0, v[2:3], s[6:7] scope:SCOPE_SYS
.LBB0_3166:                             ;   Parent Loop BB0_2003 Depth=1
                                        ; =>  This Inner Loop Header: Depth=2
	global_load_b64 v[2:3], v0, s[4:5] scope:SCOPE_SYS
	s_wait_loadcnt 0x0
	v_cmp_ne_u64_e32 vcc_lo, s[10:11], v[2:3]
	s_cbranch_vccnz .LBB0_3166
; %bb.3167:                             ;   in Loop: Header=BB0_2003 Depth=1
	s_add_co_i32 s10, s8, 0x246
	s_mov_b32 s11, s9
	s_delay_alu instid0(SALU_CYCLE_1)
	v_mov_b64_e32 v[2:3], s[10:11]
	s_wait_xcnt 0x0
	global_store_b64 v0, v[2:3], s[6:7] scope:SCOPE_SYS
.LBB0_3168:                             ;   Parent Loop BB0_2003 Depth=1
                                        ; =>  This Inner Loop Header: Depth=2
	global_load_b64 v[2:3], v0, s[4:5] scope:SCOPE_SYS
	s_wait_loadcnt 0x0
	v_cmp_ne_u64_e32 vcc_lo, s[10:11], v[2:3]
	s_cbranch_vccnz .LBB0_3168
; %bb.3169:                             ;   in Loop: Header=BB0_2003 Depth=1
	s_add_co_i32 s10, s8, 0x247
	s_mov_b32 s11, s9
	s_delay_alu instid0(SALU_CYCLE_1)
	v_mov_b64_e32 v[2:3], s[10:11]
	s_wait_xcnt 0x0
	global_store_b64 v0, v[2:3], s[6:7] scope:SCOPE_SYS
.LBB0_3170:                             ;   Parent Loop BB0_2003 Depth=1
                                        ; =>  This Inner Loop Header: Depth=2
	global_load_b64 v[2:3], v0, s[4:5] scope:SCOPE_SYS
	s_wait_loadcnt 0x0
	v_cmp_ne_u64_e32 vcc_lo, s[10:11], v[2:3]
	s_cbranch_vccnz .LBB0_3170
; %bb.3171:                             ;   in Loop: Header=BB0_2003 Depth=1
	s_add_co_i32 s10, s8, 0x248
	s_mov_b32 s11, s9
	s_delay_alu instid0(SALU_CYCLE_1)
	v_mov_b64_e32 v[2:3], s[10:11]
	s_wait_xcnt 0x0
	global_store_b64 v0, v[2:3], s[6:7] scope:SCOPE_SYS
.LBB0_3172:                             ;   Parent Loop BB0_2003 Depth=1
                                        ; =>  This Inner Loop Header: Depth=2
	global_load_b64 v[2:3], v0, s[4:5] scope:SCOPE_SYS
	s_wait_loadcnt 0x0
	v_cmp_ne_u64_e32 vcc_lo, s[10:11], v[2:3]
	s_cbranch_vccnz .LBB0_3172
; %bb.3173:                             ;   in Loop: Header=BB0_2003 Depth=1
	s_add_co_i32 s10, s8, 0x249
	s_mov_b32 s11, s9
	s_delay_alu instid0(SALU_CYCLE_1)
	v_mov_b64_e32 v[2:3], s[10:11]
	s_wait_xcnt 0x0
	global_store_b64 v0, v[2:3], s[6:7] scope:SCOPE_SYS
.LBB0_3174:                             ;   Parent Loop BB0_2003 Depth=1
                                        ; =>  This Inner Loop Header: Depth=2
	global_load_b64 v[2:3], v0, s[4:5] scope:SCOPE_SYS
	s_wait_loadcnt 0x0
	v_cmp_ne_u64_e32 vcc_lo, s[10:11], v[2:3]
	s_cbranch_vccnz .LBB0_3174
; %bb.3175:                             ;   in Loop: Header=BB0_2003 Depth=1
	s_add_co_i32 s10, s8, 0x24a
	s_mov_b32 s11, s9
	s_delay_alu instid0(SALU_CYCLE_1)
	v_mov_b64_e32 v[2:3], s[10:11]
	s_wait_xcnt 0x0
	global_store_b64 v0, v[2:3], s[6:7] scope:SCOPE_SYS
.LBB0_3176:                             ;   Parent Loop BB0_2003 Depth=1
                                        ; =>  This Inner Loop Header: Depth=2
	global_load_b64 v[2:3], v0, s[4:5] scope:SCOPE_SYS
	s_wait_loadcnt 0x0
	v_cmp_ne_u64_e32 vcc_lo, s[10:11], v[2:3]
	s_cbranch_vccnz .LBB0_3176
; %bb.3177:                             ;   in Loop: Header=BB0_2003 Depth=1
	s_add_co_i32 s10, s8, 0x24b
	s_mov_b32 s11, s9
	s_delay_alu instid0(SALU_CYCLE_1)
	v_mov_b64_e32 v[2:3], s[10:11]
	s_wait_xcnt 0x0
	global_store_b64 v0, v[2:3], s[6:7] scope:SCOPE_SYS
.LBB0_3178:                             ;   Parent Loop BB0_2003 Depth=1
                                        ; =>  This Inner Loop Header: Depth=2
	global_load_b64 v[2:3], v0, s[4:5] scope:SCOPE_SYS
	s_wait_loadcnt 0x0
	v_cmp_ne_u64_e32 vcc_lo, s[10:11], v[2:3]
	s_cbranch_vccnz .LBB0_3178
; %bb.3179:                             ;   in Loop: Header=BB0_2003 Depth=1
	s_add_co_i32 s10, s8, 0x24c
	s_mov_b32 s11, s9
	s_delay_alu instid0(SALU_CYCLE_1)
	v_mov_b64_e32 v[2:3], s[10:11]
	s_wait_xcnt 0x0
	global_store_b64 v0, v[2:3], s[6:7] scope:SCOPE_SYS
.LBB0_3180:                             ;   Parent Loop BB0_2003 Depth=1
                                        ; =>  This Inner Loop Header: Depth=2
	global_load_b64 v[2:3], v0, s[4:5] scope:SCOPE_SYS
	s_wait_loadcnt 0x0
	v_cmp_ne_u64_e32 vcc_lo, s[10:11], v[2:3]
	s_cbranch_vccnz .LBB0_3180
; %bb.3181:                             ;   in Loop: Header=BB0_2003 Depth=1
	s_add_co_i32 s10, s8, 0x24d
	s_mov_b32 s11, s9
	s_delay_alu instid0(SALU_CYCLE_1)
	v_mov_b64_e32 v[2:3], s[10:11]
	s_wait_xcnt 0x0
	global_store_b64 v0, v[2:3], s[6:7] scope:SCOPE_SYS
.LBB0_3182:                             ;   Parent Loop BB0_2003 Depth=1
                                        ; =>  This Inner Loop Header: Depth=2
	global_load_b64 v[2:3], v0, s[4:5] scope:SCOPE_SYS
	s_wait_loadcnt 0x0
	v_cmp_ne_u64_e32 vcc_lo, s[10:11], v[2:3]
	s_cbranch_vccnz .LBB0_3182
; %bb.3183:                             ;   in Loop: Header=BB0_2003 Depth=1
	s_add_co_i32 s10, s8, 0x24e
	s_mov_b32 s11, s9
	s_delay_alu instid0(SALU_CYCLE_1)
	v_mov_b64_e32 v[2:3], s[10:11]
	s_wait_xcnt 0x0
	global_store_b64 v0, v[2:3], s[6:7] scope:SCOPE_SYS
.LBB0_3184:                             ;   Parent Loop BB0_2003 Depth=1
                                        ; =>  This Inner Loop Header: Depth=2
	global_load_b64 v[2:3], v0, s[4:5] scope:SCOPE_SYS
	s_wait_loadcnt 0x0
	v_cmp_ne_u64_e32 vcc_lo, s[10:11], v[2:3]
	s_cbranch_vccnz .LBB0_3184
; %bb.3185:                             ;   in Loop: Header=BB0_2003 Depth=1
	s_add_co_i32 s10, s8, 0x24f
	s_mov_b32 s11, s9
	s_delay_alu instid0(SALU_CYCLE_1)
	v_mov_b64_e32 v[2:3], s[10:11]
	s_wait_xcnt 0x0
	global_store_b64 v0, v[2:3], s[6:7] scope:SCOPE_SYS
.LBB0_3186:                             ;   Parent Loop BB0_2003 Depth=1
                                        ; =>  This Inner Loop Header: Depth=2
	global_load_b64 v[2:3], v0, s[4:5] scope:SCOPE_SYS
	s_wait_loadcnt 0x0
	v_cmp_ne_u64_e32 vcc_lo, s[10:11], v[2:3]
	s_cbranch_vccnz .LBB0_3186
; %bb.3187:                             ;   in Loop: Header=BB0_2003 Depth=1
	s_add_co_i32 s10, s8, 0x250
	s_mov_b32 s11, s9
	s_delay_alu instid0(SALU_CYCLE_1)
	v_mov_b64_e32 v[2:3], s[10:11]
	s_wait_xcnt 0x0
	global_store_b64 v0, v[2:3], s[6:7] scope:SCOPE_SYS
.LBB0_3188:                             ;   Parent Loop BB0_2003 Depth=1
                                        ; =>  This Inner Loop Header: Depth=2
	global_load_b64 v[2:3], v0, s[4:5] scope:SCOPE_SYS
	s_wait_loadcnt 0x0
	v_cmp_ne_u64_e32 vcc_lo, s[10:11], v[2:3]
	s_cbranch_vccnz .LBB0_3188
; %bb.3189:                             ;   in Loop: Header=BB0_2003 Depth=1
	s_add_co_i32 s10, s8, 0x251
	s_mov_b32 s11, s9
	s_delay_alu instid0(SALU_CYCLE_1)
	v_mov_b64_e32 v[2:3], s[10:11]
	s_wait_xcnt 0x0
	global_store_b64 v0, v[2:3], s[6:7] scope:SCOPE_SYS
.LBB0_3190:                             ;   Parent Loop BB0_2003 Depth=1
                                        ; =>  This Inner Loop Header: Depth=2
	global_load_b64 v[2:3], v0, s[4:5] scope:SCOPE_SYS
	s_wait_loadcnt 0x0
	v_cmp_ne_u64_e32 vcc_lo, s[10:11], v[2:3]
	s_cbranch_vccnz .LBB0_3190
; %bb.3191:                             ;   in Loop: Header=BB0_2003 Depth=1
	s_add_co_i32 s10, s8, 0x252
	s_mov_b32 s11, s9
	s_delay_alu instid0(SALU_CYCLE_1)
	v_mov_b64_e32 v[2:3], s[10:11]
	s_wait_xcnt 0x0
	global_store_b64 v0, v[2:3], s[6:7] scope:SCOPE_SYS
.LBB0_3192:                             ;   Parent Loop BB0_2003 Depth=1
                                        ; =>  This Inner Loop Header: Depth=2
	global_load_b64 v[2:3], v0, s[4:5] scope:SCOPE_SYS
	s_wait_loadcnt 0x0
	v_cmp_ne_u64_e32 vcc_lo, s[10:11], v[2:3]
	s_cbranch_vccnz .LBB0_3192
; %bb.3193:                             ;   in Loop: Header=BB0_2003 Depth=1
	s_add_co_i32 s10, s8, 0x253
	s_mov_b32 s11, s9
	s_delay_alu instid0(SALU_CYCLE_1)
	v_mov_b64_e32 v[2:3], s[10:11]
	s_wait_xcnt 0x0
	global_store_b64 v0, v[2:3], s[6:7] scope:SCOPE_SYS
.LBB0_3194:                             ;   Parent Loop BB0_2003 Depth=1
                                        ; =>  This Inner Loop Header: Depth=2
	global_load_b64 v[2:3], v0, s[4:5] scope:SCOPE_SYS
	s_wait_loadcnt 0x0
	v_cmp_ne_u64_e32 vcc_lo, s[10:11], v[2:3]
	s_cbranch_vccnz .LBB0_3194
; %bb.3195:                             ;   in Loop: Header=BB0_2003 Depth=1
	s_add_co_i32 s10, s8, 0x254
	s_mov_b32 s11, s9
	s_delay_alu instid0(SALU_CYCLE_1)
	v_mov_b64_e32 v[2:3], s[10:11]
	s_wait_xcnt 0x0
	global_store_b64 v0, v[2:3], s[6:7] scope:SCOPE_SYS
.LBB0_3196:                             ;   Parent Loop BB0_2003 Depth=1
                                        ; =>  This Inner Loop Header: Depth=2
	global_load_b64 v[2:3], v0, s[4:5] scope:SCOPE_SYS
	s_wait_loadcnt 0x0
	v_cmp_ne_u64_e32 vcc_lo, s[10:11], v[2:3]
	s_cbranch_vccnz .LBB0_3196
; %bb.3197:                             ;   in Loop: Header=BB0_2003 Depth=1
	s_add_co_i32 s10, s8, 0x255
	s_mov_b32 s11, s9
	s_delay_alu instid0(SALU_CYCLE_1)
	v_mov_b64_e32 v[2:3], s[10:11]
	s_wait_xcnt 0x0
	global_store_b64 v0, v[2:3], s[6:7] scope:SCOPE_SYS
.LBB0_3198:                             ;   Parent Loop BB0_2003 Depth=1
                                        ; =>  This Inner Loop Header: Depth=2
	global_load_b64 v[2:3], v0, s[4:5] scope:SCOPE_SYS
	s_wait_loadcnt 0x0
	v_cmp_ne_u64_e32 vcc_lo, s[10:11], v[2:3]
	s_cbranch_vccnz .LBB0_3198
; %bb.3199:                             ;   in Loop: Header=BB0_2003 Depth=1
	s_add_co_i32 s10, s8, 0x256
	s_mov_b32 s11, s9
	s_delay_alu instid0(SALU_CYCLE_1)
	v_mov_b64_e32 v[2:3], s[10:11]
	s_wait_xcnt 0x0
	global_store_b64 v0, v[2:3], s[6:7] scope:SCOPE_SYS
.LBB0_3200:                             ;   Parent Loop BB0_2003 Depth=1
                                        ; =>  This Inner Loop Header: Depth=2
	global_load_b64 v[2:3], v0, s[4:5] scope:SCOPE_SYS
	s_wait_loadcnt 0x0
	v_cmp_ne_u64_e32 vcc_lo, s[10:11], v[2:3]
	s_cbranch_vccnz .LBB0_3200
; %bb.3201:                             ;   in Loop: Header=BB0_2003 Depth=1
	s_add_co_i32 s10, s8, 0x257
	s_mov_b32 s11, s9
	s_delay_alu instid0(SALU_CYCLE_1)
	v_mov_b64_e32 v[2:3], s[10:11]
	s_wait_xcnt 0x0
	global_store_b64 v0, v[2:3], s[6:7] scope:SCOPE_SYS
.LBB0_3202:                             ;   Parent Loop BB0_2003 Depth=1
                                        ; =>  This Inner Loop Header: Depth=2
	global_load_b64 v[2:3], v0, s[4:5] scope:SCOPE_SYS
	s_wait_loadcnt 0x0
	v_cmp_ne_u64_e32 vcc_lo, s[10:11], v[2:3]
	s_cbranch_vccnz .LBB0_3202
; %bb.3203:                             ;   in Loop: Header=BB0_2003 Depth=1
	s_add_co_i32 s10, s8, 0x258
	s_mov_b32 s11, s9
	s_delay_alu instid0(SALU_CYCLE_1)
	v_mov_b64_e32 v[2:3], s[10:11]
	s_wait_xcnt 0x0
	global_store_b64 v0, v[2:3], s[6:7] scope:SCOPE_SYS
.LBB0_3204:                             ;   Parent Loop BB0_2003 Depth=1
                                        ; =>  This Inner Loop Header: Depth=2
	global_load_b64 v[2:3], v0, s[4:5] scope:SCOPE_SYS
	s_wait_loadcnt 0x0
	v_cmp_ne_u64_e32 vcc_lo, s[10:11], v[2:3]
	s_cbranch_vccnz .LBB0_3204
; %bb.3205:                             ;   in Loop: Header=BB0_2003 Depth=1
	s_add_co_i32 s10, s8, 0x259
	s_mov_b32 s11, s9
	s_delay_alu instid0(SALU_CYCLE_1)
	v_mov_b64_e32 v[2:3], s[10:11]
	s_wait_xcnt 0x0
	global_store_b64 v0, v[2:3], s[6:7] scope:SCOPE_SYS
.LBB0_3206:                             ;   Parent Loop BB0_2003 Depth=1
                                        ; =>  This Inner Loop Header: Depth=2
	global_load_b64 v[2:3], v0, s[4:5] scope:SCOPE_SYS
	s_wait_loadcnt 0x0
	v_cmp_ne_u64_e32 vcc_lo, s[10:11], v[2:3]
	s_cbranch_vccnz .LBB0_3206
; %bb.3207:                             ;   in Loop: Header=BB0_2003 Depth=1
	s_add_co_i32 s10, s8, 0x25a
	s_mov_b32 s11, s9
	s_delay_alu instid0(SALU_CYCLE_1)
	v_mov_b64_e32 v[2:3], s[10:11]
	s_wait_xcnt 0x0
	global_store_b64 v0, v[2:3], s[6:7] scope:SCOPE_SYS
.LBB0_3208:                             ;   Parent Loop BB0_2003 Depth=1
                                        ; =>  This Inner Loop Header: Depth=2
	global_load_b64 v[2:3], v0, s[4:5] scope:SCOPE_SYS
	s_wait_loadcnt 0x0
	v_cmp_ne_u64_e32 vcc_lo, s[10:11], v[2:3]
	s_cbranch_vccnz .LBB0_3208
; %bb.3209:                             ;   in Loop: Header=BB0_2003 Depth=1
	s_add_co_i32 s10, s8, 0x25b
	s_mov_b32 s11, s9
	s_delay_alu instid0(SALU_CYCLE_1)
	v_mov_b64_e32 v[2:3], s[10:11]
	s_wait_xcnt 0x0
	global_store_b64 v0, v[2:3], s[6:7] scope:SCOPE_SYS
.LBB0_3210:                             ;   Parent Loop BB0_2003 Depth=1
                                        ; =>  This Inner Loop Header: Depth=2
	global_load_b64 v[2:3], v0, s[4:5] scope:SCOPE_SYS
	s_wait_loadcnt 0x0
	v_cmp_ne_u64_e32 vcc_lo, s[10:11], v[2:3]
	s_cbranch_vccnz .LBB0_3210
; %bb.3211:                             ;   in Loop: Header=BB0_2003 Depth=1
	s_add_co_i32 s10, s8, 0x25c
	s_mov_b32 s11, s9
	s_delay_alu instid0(SALU_CYCLE_1)
	v_mov_b64_e32 v[2:3], s[10:11]
	s_wait_xcnt 0x0
	global_store_b64 v0, v[2:3], s[6:7] scope:SCOPE_SYS
.LBB0_3212:                             ;   Parent Loop BB0_2003 Depth=1
                                        ; =>  This Inner Loop Header: Depth=2
	global_load_b64 v[2:3], v0, s[4:5] scope:SCOPE_SYS
	s_wait_loadcnt 0x0
	v_cmp_ne_u64_e32 vcc_lo, s[10:11], v[2:3]
	s_cbranch_vccnz .LBB0_3212
; %bb.3213:                             ;   in Loop: Header=BB0_2003 Depth=1
	s_add_co_i32 s10, s8, 0x25d
	s_mov_b32 s11, s9
	s_delay_alu instid0(SALU_CYCLE_1)
	v_mov_b64_e32 v[2:3], s[10:11]
	s_wait_xcnt 0x0
	global_store_b64 v0, v[2:3], s[6:7] scope:SCOPE_SYS
.LBB0_3214:                             ;   Parent Loop BB0_2003 Depth=1
                                        ; =>  This Inner Loop Header: Depth=2
	global_load_b64 v[2:3], v0, s[4:5] scope:SCOPE_SYS
	s_wait_loadcnt 0x0
	v_cmp_ne_u64_e32 vcc_lo, s[10:11], v[2:3]
	s_cbranch_vccnz .LBB0_3214
; %bb.3215:                             ;   in Loop: Header=BB0_2003 Depth=1
	s_add_co_i32 s10, s8, 0x25e
	s_mov_b32 s11, s9
	s_delay_alu instid0(SALU_CYCLE_1)
	v_mov_b64_e32 v[2:3], s[10:11]
	s_wait_xcnt 0x0
	global_store_b64 v0, v[2:3], s[6:7] scope:SCOPE_SYS
.LBB0_3216:                             ;   Parent Loop BB0_2003 Depth=1
                                        ; =>  This Inner Loop Header: Depth=2
	global_load_b64 v[2:3], v0, s[4:5] scope:SCOPE_SYS
	s_wait_loadcnt 0x0
	v_cmp_ne_u64_e32 vcc_lo, s[10:11], v[2:3]
	s_cbranch_vccnz .LBB0_3216
; %bb.3217:                             ;   in Loop: Header=BB0_2003 Depth=1
	s_add_co_i32 s10, s8, 0x25f
	s_mov_b32 s11, s9
	s_delay_alu instid0(SALU_CYCLE_1)
	v_mov_b64_e32 v[2:3], s[10:11]
	s_wait_xcnt 0x0
	global_store_b64 v0, v[2:3], s[6:7] scope:SCOPE_SYS
.LBB0_3218:                             ;   Parent Loop BB0_2003 Depth=1
                                        ; =>  This Inner Loop Header: Depth=2
	global_load_b64 v[2:3], v0, s[4:5] scope:SCOPE_SYS
	s_wait_loadcnt 0x0
	v_cmp_ne_u64_e32 vcc_lo, s[10:11], v[2:3]
	s_cbranch_vccnz .LBB0_3218
; %bb.3219:                             ;   in Loop: Header=BB0_2003 Depth=1
	s_add_co_i32 s10, s8, 0x260
	s_mov_b32 s11, s9
	s_delay_alu instid0(SALU_CYCLE_1)
	v_mov_b64_e32 v[2:3], s[10:11]
	s_wait_xcnt 0x0
	global_store_b64 v0, v[2:3], s[6:7] scope:SCOPE_SYS
.LBB0_3220:                             ;   Parent Loop BB0_2003 Depth=1
                                        ; =>  This Inner Loop Header: Depth=2
	global_load_b64 v[2:3], v0, s[4:5] scope:SCOPE_SYS
	s_wait_loadcnt 0x0
	v_cmp_ne_u64_e32 vcc_lo, s[10:11], v[2:3]
	s_cbranch_vccnz .LBB0_3220
; %bb.3221:                             ;   in Loop: Header=BB0_2003 Depth=1
	s_add_co_i32 s10, s8, 0x261
	s_mov_b32 s11, s9
	s_delay_alu instid0(SALU_CYCLE_1)
	v_mov_b64_e32 v[2:3], s[10:11]
	s_wait_xcnt 0x0
	global_store_b64 v0, v[2:3], s[6:7] scope:SCOPE_SYS
.LBB0_3222:                             ;   Parent Loop BB0_2003 Depth=1
                                        ; =>  This Inner Loop Header: Depth=2
	global_load_b64 v[2:3], v0, s[4:5] scope:SCOPE_SYS
	s_wait_loadcnt 0x0
	v_cmp_ne_u64_e32 vcc_lo, s[10:11], v[2:3]
	s_cbranch_vccnz .LBB0_3222
; %bb.3223:                             ;   in Loop: Header=BB0_2003 Depth=1
	s_add_co_i32 s10, s8, 0x262
	s_mov_b32 s11, s9
	s_delay_alu instid0(SALU_CYCLE_1)
	v_mov_b64_e32 v[2:3], s[10:11]
	s_wait_xcnt 0x0
	global_store_b64 v0, v[2:3], s[6:7] scope:SCOPE_SYS
.LBB0_3224:                             ;   Parent Loop BB0_2003 Depth=1
                                        ; =>  This Inner Loop Header: Depth=2
	global_load_b64 v[2:3], v0, s[4:5] scope:SCOPE_SYS
	s_wait_loadcnt 0x0
	v_cmp_ne_u64_e32 vcc_lo, s[10:11], v[2:3]
	s_cbranch_vccnz .LBB0_3224
; %bb.3225:                             ;   in Loop: Header=BB0_2003 Depth=1
	s_add_co_i32 s10, s8, 0x263
	s_mov_b32 s11, s9
	s_delay_alu instid0(SALU_CYCLE_1)
	v_mov_b64_e32 v[2:3], s[10:11]
	s_wait_xcnt 0x0
	global_store_b64 v0, v[2:3], s[6:7] scope:SCOPE_SYS
.LBB0_3226:                             ;   Parent Loop BB0_2003 Depth=1
                                        ; =>  This Inner Loop Header: Depth=2
	global_load_b64 v[2:3], v0, s[4:5] scope:SCOPE_SYS
	s_wait_loadcnt 0x0
	v_cmp_ne_u64_e32 vcc_lo, s[10:11], v[2:3]
	s_cbranch_vccnz .LBB0_3226
; %bb.3227:                             ;   in Loop: Header=BB0_2003 Depth=1
	s_add_co_i32 s10, s8, 0x264
	s_mov_b32 s11, s9
	s_delay_alu instid0(SALU_CYCLE_1)
	v_mov_b64_e32 v[2:3], s[10:11]
	s_wait_xcnt 0x0
	global_store_b64 v0, v[2:3], s[6:7] scope:SCOPE_SYS
.LBB0_3228:                             ;   Parent Loop BB0_2003 Depth=1
                                        ; =>  This Inner Loop Header: Depth=2
	global_load_b64 v[2:3], v0, s[4:5] scope:SCOPE_SYS
	s_wait_loadcnt 0x0
	v_cmp_ne_u64_e32 vcc_lo, s[10:11], v[2:3]
	s_cbranch_vccnz .LBB0_3228
; %bb.3229:                             ;   in Loop: Header=BB0_2003 Depth=1
	s_add_co_i32 s10, s8, 0x265
	s_mov_b32 s11, s9
	s_delay_alu instid0(SALU_CYCLE_1)
	v_mov_b64_e32 v[2:3], s[10:11]
	s_wait_xcnt 0x0
	global_store_b64 v0, v[2:3], s[6:7] scope:SCOPE_SYS
.LBB0_3230:                             ;   Parent Loop BB0_2003 Depth=1
                                        ; =>  This Inner Loop Header: Depth=2
	global_load_b64 v[2:3], v0, s[4:5] scope:SCOPE_SYS
	s_wait_loadcnt 0x0
	v_cmp_ne_u64_e32 vcc_lo, s[10:11], v[2:3]
	s_cbranch_vccnz .LBB0_3230
; %bb.3231:                             ;   in Loop: Header=BB0_2003 Depth=1
	s_add_co_i32 s10, s8, 0x266
	s_mov_b32 s11, s9
	s_delay_alu instid0(SALU_CYCLE_1)
	v_mov_b64_e32 v[2:3], s[10:11]
	s_wait_xcnt 0x0
	global_store_b64 v0, v[2:3], s[6:7] scope:SCOPE_SYS
.LBB0_3232:                             ;   Parent Loop BB0_2003 Depth=1
                                        ; =>  This Inner Loop Header: Depth=2
	global_load_b64 v[2:3], v0, s[4:5] scope:SCOPE_SYS
	s_wait_loadcnt 0x0
	v_cmp_ne_u64_e32 vcc_lo, s[10:11], v[2:3]
	s_cbranch_vccnz .LBB0_3232
; %bb.3233:                             ;   in Loop: Header=BB0_2003 Depth=1
	s_add_co_i32 s10, s8, 0x267
	s_mov_b32 s11, s9
	s_delay_alu instid0(SALU_CYCLE_1)
	v_mov_b64_e32 v[2:3], s[10:11]
	s_wait_xcnt 0x0
	global_store_b64 v0, v[2:3], s[6:7] scope:SCOPE_SYS
.LBB0_3234:                             ;   Parent Loop BB0_2003 Depth=1
                                        ; =>  This Inner Loop Header: Depth=2
	global_load_b64 v[2:3], v0, s[4:5] scope:SCOPE_SYS
	s_wait_loadcnt 0x0
	v_cmp_ne_u64_e32 vcc_lo, s[10:11], v[2:3]
	s_cbranch_vccnz .LBB0_3234
; %bb.3235:                             ;   in Loop: Header=BB0_2003 Depth=1
	s_add_co_i32 s10, s8, 0x268
	s_mov_b32 s11, s9
	s_delay_alu instid0(SALU_CYCLE_1)
	v_mov_b64_e32 v[2:3], s[10:11]
	s_wait_xcnt 0x0
	global_store_b64 v0, v[2:3], s[6:7] scope:SCOPE_SYS
.LBB0_3236:                             ;   Parent Loop BB0_2003 Depth=1
                                        ; =>  This Inner Loop Header: Depth=2
	global_load_b64 v[2:3], v0, s[4:5] scope:SCOPE_SYS
	s_wait_loadcnt 0x0
	v_cmp_ne_u64_e32 vcc_lo, s[10:11], v[2:3]
	s_cbranch_vccnz .LBB0_3236
; %bb.3237:                             ;   in Loop: Header=BB0_2003 Depth=1
	s_add_co_i32 s10, s8, 0x269
	s_mov_b32 s11, s9
	s_delay_alu instid0(SALU_CYCLE_1)
	v_mov_b64_e32 v[2:3], s[10:11]
	s_wait_xcnt 0x0
	global_store_b64 v0, v[2:3], s[6:7] scope:SCOPE_SYS
.LBB0_3238:                             ;   Parent Loop BB0_2003 Depth=1
                                        ; =>  This Inner Loop Header: Depth=2
	global_load_b64 v[2:3], v0, s[4:5] scope:SCOPE_SYS
	s_wait_loadcnt 0x0
	v_cmp_ne_u64_e32 vcc_lo, s[10:11], v[2:3]
	s_cbranch_vccnz .LBB0_3238
; %bb.3239:                             ;   in Loop: Header=BB0_2003 Depth=1
	s_add_co_i32 s10, s8, 0x26a
	s_mov_b32 s11, s9
	s_delay_alu instid0(SALU_CYCLE_1)
	v_mov_b64_e32 v[2:3], s[10:11]
	s_wait_xcnt 0x0
	global_store_b64 v0, v[2:3], s[6:7] scope:SCOPE_SYS
.LBB0_3240:                             ;   Parent Loop BB0_2003 Depth=1
                                        ; =>  This Inner Loop Header: Depth=2
	global_load_b64 v[2:3], v0, s[4:5] scope:SCOPE_SYS
	s_wait_loadcnt 0x0
	v_cmp_ne_u64_e32 vcc_lo, s[10:11], v[2:3]
	s_cbranch_vccnz .LBB0_3240
; %bb.3241:                             ;   in Loop: Header=BB0_2003 Depth=1
	s_add_co_i32 s10, s8, 0x26b
	s_mov_b32 s11, s9
	s_delay_alu instid0(SALU_CYCLE_1)
	v_mov_b64_e32 v[2:3], s[10:11]
	s_wait_xcnt 0x0
	global_store_b64 v0, v[2:3], s[6:7] scope:SCOPE_SYS
.LBB0_3242:                             ;   Parent Loop BB0_2003 Depth=1
                                        ; =>  This Inner Loop Header: Depth=2
	global_load_b64 v[2:3], v0, s[4:5] scope:SCOPE_SYS
	s_wait_loadcnt 0x0
	v_cmp_ne_u64_e32 vcc_lo, s[10:11], v[2:3]
	s_cbranch_vccnz .LBB0_3242
; %bb.3243:                             ;   in Loop: Header=BB0_2003 Depth=1
	s_add_co_i32 s10, s8, 0x26c
	s_mov_b32 s11, s9
	s_delay_alu instid0(SALU_CYCLE_1)
	v_mov_b64_e32 v[2:3], s[10:11]
	s_wait_xcnt 0x0
	global_store_b64 v0, v[2:3], s[6:7] scope:SCOPE_SYS
.LBB0_3244:                             ;   Parent Loop BB0_2003 Depth=1
                                        ; =>  This Inner Loop Header: Depth=2
	global_load_b64 v[2:3], v0, s[4:5] scope:SCOPE_SYS
	s_wait_loadcnt 0x0
	v_cmp_ne_u64_e32 vcc_lo, s[10:11], v[2:3]
	s_cbranch_vccnz .LBB0_3244
; %bb.3245:                             ;   in Loop: Header=BB0_2003 Depth=1
	s_add_co_i32 s10, s8, 0x26d
	s_mov_b32 s11, s9
	s_delay_alu instid0(SALU_CYCLE_1)
	v_mov_b64_e32 v[2:3], s[10:11]
	s_wait_xcnt 0x0
	global_store_b64 v0, v[2:3], s[6:7] scope:SCOPE_SYS
.LBB0_3246:                             ;   Parent Loop BB0_2003 Depth=1
                                        ; =>  This Inner Loop Header: Depth=2
	global_load_b64 v[2:3], v0, s[4:5] scope:SCOPE_SYS
	s_wait_loadcnt 0x0
	v_cmp_ne_u64_e32 vcc_lo, s[10:11], v[2:3]
	s_cbranch_vccnz .LBB0_3246
; %bb.3247:                             ;   in Loop: Header=BB0_2003 Depth=1
	s_add_co_i32 s10, s8, 0x26e
	s_mov_b32 s11, s9
	s_delay_alu instid0(SALU_CYCLE_1)
	v_mov_b64_e32 v[2:3], s[10:11]
	s_wait_xcnt 0x0
	global_store_b64 v0, v[2:3], s[6:7] scope:SCOPE_SYS
.LBB0_3248:                             ;   Parent Loop BB0_2003 Depth=1
                                        ; =>  This Inner Loop Header: Depth=2
	global_load_b64 v[2:3], v0, s[4:5] scope:SCOPE_SYS
	s_wait_loadcnt 0x0
	v_cmp_ne_u64_e32 vcc_lo, s[10:11], v[2:3]
	s_cbranch_vccnz .LBB0_3248
; %bb.3249:                             ;   in Loop: Header=BB0_2003 Depth=1
	s_add_co_i32 s10, s8, 0x26f
	s_mov_b32 s11, s9
	s_delay_alu instid0(SALU_CYCLE_1)
	v_mov_b64_e32 v[2:3], s[10:11]
	s_wait_xcnt 0x0
	global_store_b64 v0, v[2:3], s[6:7] scope:SCOPE_SYS
.LBB0_3250:                             ;   Parent Loop BB0_2003 Depth=1
                                        ; =>  This Inner Loop Header: Depth=2
	global_load_b64 v[2:3], v0, s[4:5] scope:SCOPE_SYS
	s_wait_loadcnt 0x0
	v_cmp_ne_u64_e32 vcc_lo, s[10:11], v[2:3]
	s_cbranch_vccnz .LBB0_3250
; %bb.3251:                             ;   in Loop: Header=BB0_2003 Depth=1
	s_add_co_i32 s10, s8, 0x270
	s_mov_b32 s11, s9
	s_delay_alu instid0(SALU_CYCLE_1)
	v_mov_b64_e32 v[2:3], s[10:11]
	s_wait_xcnt 0x0
	global_store_b64 v0, v[2:3], s[6:7] scope:SCOPE_SYS
.LBB0_3252:                             ;   Parent Loop BB0_2003 Depth=1
                                        ; =>  This Inner Loop Header: Depth=2
	global_load_b64 v[2:3], v0, s[4:5] scope:SCOPE_SYS
	s_wait_loadcnt 0x0
	v_cmp_ne_u64_e32 vcc_lo, s[10:11], v[2:3]
	s_cbranch_vccnz .LBB0_3252
; %bb.3253:                             ;   in Loop: Header=BB0_2003 Depth=1
	s_add_co_i32 s10, s8, 0x271
	s_mov_b32 s11, s9
	s_delay_alu instid0(SALU_CYCLE_1)
	v_mov_b64_e32 v[2:3], s[10:11]
	s_wait_xcnt 0x0
	global_store_b64 v0, v[2:3], s[6:7] scope:SCOPE_SYS
.LBB0_3254:                             ;   Parent Loop BB0_2003 Depth=1
                                        ; =>  This Inner Loop Header: Depth=2
	global_load_b64 v[2:3], v0, s[4:5] scope:SCOPE_SYS
	s_wait_loadcnt 0x0
	v_cmp_ne_u64_e32 vcc_lo, s[10:11], v[2:3]
	s_cbranch_vccnz .LBB0_3254
; %bb.3255:                             ;   in Loop: Header=BB0_2003 Depth=1
	s_add_co_i32 s10, s8, 0x272
	s_mov_b32 s11, s9
	s_delay_alu instid0(SALU_CYCLE_1)
	v_mov_b64_e32 v[2:3], s[10:11]
	s_wait_xcnt 0x0
	global_store_b64 v0, v[2:3], s[6:7] scope:SCOPE_SYS
.LBB0_3256:                             ;   Parent Loop BB0_2003 Depth=1
                                        ; =>  This Inner Loop Header: Depth=2
	global_load_b64 v[2:3], v0, s[4:5] scope:SCOPE_SYS
	s_wait_loadcnt 0x0
	v_cmp_ne_u64_e32 vcc_lo, s[10:11], v[2:3]
	s_cbranch_vccnz .LBB0_3256
; %bb.3257:                             ;   in Loop: Header=BB0_2003 Depth=1
	s_add_co_i32 s10, s8, 0x273
	s_mov_b32 s11, s9
	s_delay_alu instid0(SALU_CYCLE_1)
	v_mov_b64_e32 v[2:3], s[10:11]
	s_wait_xcnt 0x0
	global_store_b64 v0, v[2:3], s[6:7] scope:SCOPE_SYS
.LBB0_3258:                             ;   Parent Loop BB0_2003 Depth=1
                                        ; =>  This Inner Loop Header: Depth=2
	global_load_b64 v[2:3], v0, s[4:5] scope:SCOPE_SYS
	s_wait_loadcnt 0x0
	v_cmp_ne_u64_e32 vcc_lo, s[10:11], v[2:3]
	s_cbranch_vccnz .LBB0_3258
; %bb.3259:                             ;   in Loop: Header=BB0_2003 Depth=1
	s_add_co_i32 s10, s8, 0x274
	s_mov_b32 s11, s9
	s_delay_alu instid0(SALU_CYCLE_1)
	v_mov_b64_e32 v[2:3], s[10:11]
	s_wait_xcnt 0x0
	global_store_b64 v0, v[2:3], s[6:7] scope:SCOPE_SYS
.LBB0_3260:                             ;   Parent Loop BB0_2003 Depth=1
                                        ; =>  This Inner Loop Header: Depth=2
	global_load_b64 v[2:3], v0, s[4:5] scope:SCOPE_SYS
	s_wait_loadcnt 0x0
	v_cmp_ne_u64_e32 vcc_lo, s[10:11], v[2:3]
	s_cbranch_vccnz .LBB0_3260
; %bb.3261:                             ;   in Loop: Header=BB0_2003 Depth=1
	s_add_co_i32 s10, s8, 0x275
	s_mov_b32 s11, s9
	s_delay_alu instid0(SALU_CYCLE_1)
	v_mov_b64_e32 v[2:3], s[10:11]
	s_wait_xcnt 0x0
	global_store_b64 v0, v[2:3], s[6:7] scope:SCOPE_SYS
.LBB0_3262:                             ;   Parent Loop BB0_2003 Depth=1
                                        ; =>  This Inner Loop Header: Depth=2
	global_load_b64 v[2:3], v0, s[4:5] scope:SCOPE_SYS
	s_wait_loadcnt 0x0
	v_cmp_ne_u64_e32 vcc_lo, s[10:11], v[2:3]
	s_cbranch_vccnz .LBB0_3262
; %bb.3263:                             ;   in Loop: Header=BB0_2003 Depth=1
	s_add_co_i32 s10, s8, 0x276
	s_mov_b32 s11, s9
	s_delay_alu instid0(SALU_CYCLE_1)
	v_mov_b64_e32 v[2:3], s[10:11]
	s_wait_xcnt 0x0
	global_store_b64 v0, v[2:3], s[6:7] scope:SCOPE_SYS
.LBB0_3264:                             ;   Parent Loop BB0_2003 Depth=1
                                        ; =>  This Inner Loop Header: Depth=2
	global_load_b64 v[2:3], v0, s[4:5] scope:SCOPE_SYS
	s_wait_loadcnt 0x0
	v_cmp_ne_u64_e32 vcc_lo, s[10:11], v[2:3]
	s_cbranch_vccnz .LBB0_3264
; %bb.3265:                             ;   in Loop: Header=BB0_2003 Depth=1
	s_add_co_i32 s10, s8, 0x277
	s_mov_b32 s11, s9
	s_delay_alu instid0(SALU_CYCLE_1)
	v_mov_b64_e32 v[2:3], s[10:11]
	s_wait_xcnt 0x0
	global_store_b64 v0, v[2:3], s[6:7] scope:SCOPE_SYS
.LBB0_3266:                             ;   Parent Loop BB0_2003 Depth=1
                                        ; =>  This Inner Loop Header: Depth=2
	global_load_b64 v[2:3], v0, s[4:5] scope:SCOPE_SYS
	s_wait_loadcnt 0x0
	v_cmp_ne_u64_e32 vcc_lo, s[10:11], v[2:3]
	s_cbranch_vccnz .LBB0_3266
; %bb.3267:                             ;   in Loop: Header=BB0_2003 Depth=1
	s_add_co_i32 s10, s8, 0x278
	s_mov_b32 s11, s9
	s_delay_alu instid0(SALU_CYCLE_1)
	v_mov_b64_e32 v[2:3], s[10:11]
	s_wait_xcnt 0x0
	global_store_b64 v0, v[2:3], s[6:7] scope:SCOPE_SYS
.LBB0_3268:                             ;   Parent Loop BB0_2003 Depth=1
                                        ; =>  This Inner Loop Header: Depth=2
	global_load_b64 v[2:3], v0, s[4:5] scope:SCOPE_SYS
	s_wait_loadcnt 0x0
	v_cmp_ne_u64_e32 vcc_lo, s[10:11], v[2:3]
	s_cbranch_vccnz .LBB0_3268
; %bb.3269:                             ;   in Loop: Header=BB0_2003 Depth=1
	s_add_co_i32 s10, s8, 0x279
	s_mov_b32 s11, s9
	s_delay_alu instid0(SALU_CYCLE_1)
	v_mov_b64_e32 v[2:3], s[10:11]
	s_wait_xcnt 0x0
	global_store_b64 v0, v[2:3], s[6:7] scope:SCOPE_SYS
.LBB0_3270:                             ;   Parent Loop BB0_2003 Depth=1
                                        ; =>  This Inner Loop Header: Depth=2
	global_load_b64 v[2:3], v0, s[4:5] scope:SCOPE_SYS
	s_wait_loadcnt 0x0
	v_cmp_ne_u64_e32 vcc_lo, s[10:11], v[2:3]
	s_cbranch_vccnz .LBB0_3270
; %bb.3271:                             ;   in Loop: Header=BB0_2003 Depth=1
	s_add_co_i32 s10, s8, 0x27a
	s_mov_b32 s11, s9
	s_delay_alu instid0(SALU_CYCLE_1)
	v_mov_b64_e32 v[2:3], s[10:11]
	s_wait_xcnt 0x0
	global_store_b64 v0, v[2:3], s[6:7] scope:SCOPE_SYS
.LBB0_3272:                             ;   Parent Loop BB0_2003 Depth=1
                                        ; =>  This Inner Loop Header: Depth=2
	global_load_b64 v[2:3], v0, s[4:5] scope:SCOPE_SYS
	s_wait_loadcnt 0x0
	v_cmp_ne_u64_e32 vcc_lo, s[10:11], v[2:3]
	s_cbranch_vccnz .LBB0_3272
; %bb.3273:                             ;   in Loop: Header=BB0_2003 Depth=1
	s_add_co_i32 s10, s8, 0x27b
	s_mov_b32 s11, s9
	s_delay_alu instid0(SALU_CYCLE_1)
	v_mov_b64_e32 v[2:3], s[10:11]
	s_wait_xcnt 0x0
	global_store_b64 v0, v[2:3], s[6:7] scope:SCOPE_SYS
.LBB0_3274:                             ;   Parent Loop BB0_2003 Depth=1
                                        ; =>  This Inner Loop Header: Depth=2
	global_load_b64 v[2:3], v0, s[4:5] scope:SCOPE_SYS
	s_wait_loadcnt 0x0
	v_cmp_ne_u64_e32 vcc_lo, s[10:11], v[2:3]
	s_cbranch_vccnz .LBB0_3274
; %bb.3275:                             ;   in Loop: Header=BB0_2003 Depth=1
	s_add_co_i32 s10, s8, 0x27c
	s_mov_b32 s11, s9
	s_delay_alu instid0(SALU_CYCLE_1)
	v_mov_b64_e32 v[2:3], s[10:11]
	s_wait_xcnt 0x0
	global_store_b64 v0, v[2:3], s[6:7] scope:SCOPE_SYS
.LBB0_3276:                             ;   Parent Loop BB0_2003 Depth=1
                                        ; =>  This Inner Loop Header: Depth=2
	global_load_b64 v[2:3], v0, s[4:5] scope:SCOPE_SYS
	s_wait_loadcnt 0x0
	v_cmp_ne_u64_e32 vcc_lo, s[10:11], v[2:3]
	s_cbranch_vccnz .LBB0_3276
; %bb.3277:                             ;   in Loop: Header=BB0_2003 Depth=1
	s_add_co_i32 s10, s8, 0x27d
	s_mov_b32 s11, s9
	s_delay_alu instid0(SALU_CYCLE_1)
	v_mov_b64_e32 v[2:3], s[10:11]
	s_wait_xcnt 0x0
	global_store_b64 v0, v[2:3], s[6:7] scope:SCOPE_SYS
.LBB0_3278:                             ;   Parent Loop BB0_2003 Depth=1
                                        ; =>  This Inner Loop Header: Depth=2
	global_load_b64 v[2:3], v0, s[4:5] scope:SCOPE_SYS
	s_wait_loadcnt 0x0
	v_cmp_ne_u64_e32 vcc_lo, s[10:11], v[2:3]
	s_cbranch_vccnz .LBB0_3278
; %bb.3279:                             ;   in Loop: Header=BB0_2003 Depth=1
	s_add_co_i32 s10, s8, 0x27e
	s_mov_b32 s11, s9
	s_delay_alu instid0(SALU_CYCLE_1)
	v_mov_b64_e32 v[2:3], s[10:11]
	s_wait_xcnt 0x0
	global_store_b64 v0, v[2:3], s[6:7] scope:SCOPE_SYS
.LBB0_3280:                             ;   Parent Loop BB0_2003 Depth=1
                                        ; =>  This Inner Loop Header: Depth=2
	global_load_b64 v[2:3], v0, s[4:5] scope:SCOPE_SYS
	s_wait_loadcnt 0x0
	v_cmp_ne_u64_e32 vcc_lo, s[10:11], v[2:3]
	s_cbranch_vccnz .LBB0_3280
; %bb.3281:                             ;   in Loop: Header=BB0_2003 Depth=1
	s_add_co_i32 s10, s8, 0x27f
	s_mov_b32 s11, s9
	s_delay_alu instid0(SALU_CYCLE_1)
	v_mov_b64_e32 v[2:3], s[10:11]
	s_wait_xcnt 0x0
	global_store_b64 v0, v[2:3], s[6:7] scope:SCOPE_SYS
.LBB0_3282:                             ;   Parent Loop BB0_2003 Depth=1
                                        ; =>  This Inner Loop Header: Depth=2
	global_load_b64 v[2:3], v0, s[4:5] scope:SCOPE_SYS
	s_wait_loadcnt 0x0
	v_cmp_ne_u64_e32 vcc_lo, s[10:11], v[2:3]
	s_cbranch_vccnz .LBB0_3282
; %bb.3283:                             ;   in Loop: Header=BB0_2003 Depth=1
	s_add_co_i32 s10, s8, 0x280
	s_mov_b32 s11, s9
	s_delay_alu instid0(SALU_CYCLE_1)
	v_mov_b64_e32 v[2:3], s[10:11]
	s_wait_xcnt 0x0
	global_store_b64 v0, v[2:3], s[6:7] scope:SCOPE_SYS
.LBB0_3284:                             ;   Parent Loop BB0_2003 Depth=1
                                        ; =>  This Inner Loop Header: Depth=2
	global_load_b64 v[2:3], v0, s[4:5] scope:SCOPE_SYS
	s_wait_loadcnt 0x0
	v_cmp_ne_u64_e32 vcc_lo, s[10:11], v[2:3]
	s_cbranch_vccnz .LBB0_3284
; %bb.3285:                             ;   in Loop: Header=BB0_2003 Depth=1
	s_add_co_i32 s10, s8, 0x281
	s_mov_b32 s11, s9
	s_delay_alu instid0(SALU_CYCLE_1)
	v_mov_b64_e32 v[2:3], s[10:11]
	s_wait_xcnt 0x0
	global_store_b64 v0, v[2:3], s[6:7] scope:SCOPE_SYS
.LBB0_3286:                             ;   Parent Loop BB0_2003 Depth=1
                                        ; =>  This Inner Loop Header: Depth=2
	global_load_b64 v[2:3], v0, s[4:5] scope:SCOPE_SYS
	s_wait_loadcnt 0x0
	v_cmp_ne_u64_e32 vcc_lo, s[10:11], v[2:3]
	s_cbranch_vccnz .LBB0_3286
; %bb.3287:                             ;   in Loop: Header=BB0_2003 Depth=1
	s_add_co_i32 s10, s8, 0x282
	s_mov_b32 s11, s9
	s_delay_alu instid0(SALU_CYCLE_1)
	v_mov_b64_e32 v[2:3], s[10:11]
	s_wait_xcnt 0x0
	global_store_b64 v0, v[2:3], s[6:7] scope:SCOPE_SYS
.LBB0_3288:                             ;   Parent Loop BB0_2003 Depth=1
                                        ; =>  This Inner Loop Header: Depth=2
	global_load_b64 v[2:3], v0, s[4:5] scope:SCOPE_SYS
	s_wait_loadcnt 0x0
	v_cmp_ne_u64_e32 vcc_lo, s[10:11], v[2:3]
	s_cbranch_vccnz .LBB0_3288
; %bb.3289:                             ;   in Loop: Header=BB0_2003 Depth=1
	s_add_co_i32 s10, s8, 0x283
	s_mov_b32 s11, s9
	s_delay_alu instid0(SALU_CYCLE_1)
	v_mov_b64_e32 v[2:3], s[10:11]
	s_wait_xcnt 0x0
	global_store_b64 v0, v[2:3], s[6:7] scope:SCOPE_SYS
.LBB0_3290:                             ;   Parent Loop BB0_2003 Depth=1
                                        ; =>  This Inner Loop Header: Depth=2
	global_load_b64 v[2:3], v0, s[4:5] scope:SCOPE_SYS
	s_wait_loadcnt 0x0
	v_cmp_ne_u64_e32 vcc_lo, s[10:11], v[2:3]
	s_cbranch_vccnz .LBB0_3290
; %bb.3291:                             ;   in Loop: Header=BB0_2003 Depth=1
	s_add_co_i32 s10, s8, 0x284
	s_mov_b32 s11, s9
	s_delay_alu instid0(SALU_CYCLE_1)
	v_mov_b64_e32 v[2:3], s[10:11]
	s_wait_xcnt 0x0
	global_store_b64 v0, v[2:3], s[6:7] scope:SCOPE_SYS
.LBB0_3292:                             ;   Parent Loop BB0_2003 Depth=1
                                        ; =>  This Inner Loop Header: Depth=2
	global_load_b64 v[2:3], v0, s[4:5] scope:SCOPE_SYS
	s_wait_loadcnt 0x0
	v_cmp_ne_u64_e32 vcc_lo, s[10:11], v[2:3]
	s_cbranch_vccnz .LBB0_3292
; %bb.3293:                             ;   in Loop: Header=BB0_2003 Depth=1
	s_add_co_i32 s10, s8, 0x285
	s_mov_b32 s11, s9
	s_delay_alu instid0(SALU_CYCLE_1)
	v_mov_b64_e32 v[2:3], s[10:11]
	s_wait_xcnt 0x0
	global_store_b64 v0, v[2:3], s[6:7] scope:SCOPE_SYS
.LBB0_3294:                             ;   Parent Loop BB0_2003 Depth=1
                                        ; =>  This Inner Loop Header: Depth=2
	global_load_b64 v[2:3], v0, s[4:5] scope:SCOPE_SYS
	s_wait_loadcnt 0x0
	v_cmp_ne_u64_e32 vcc_lo, s[10:11], v[2:3]
	s_cbranch_vccnz .LBB0_3294
; %bb.3295:                             ;   in Loop: Header=BB0_2003 Depth=1
	s_add_co_i32 s10, s8, 0x286
	s_mov_b32 s11, s9
	s_delay_alu instid0(SALU_CYCLE_1)
	v_mov_b64_e32 v[2:3], s[10:11]
	s_wait_xcnt 0x0
	global_store_b64 v0, v[2:3], s[6:7] scope:SCOPE_SYS
.LBB0_3296:                             ;   Parent Loop BB0_2003 Depth=1
                                        ; =>  This Inner Loop Header: Depth=2
	global_load_b64 v[2:3], v0, s[4:5] scope:SCOPE_SYS
	s_wait_loadcnt 0x0
	v_cmp_ne_u64_e32 vcc_lo, s[10:11], v[2:3]
	s_cbranch_vccnz .LBB0_3296
; %bb.3297:                             ;   in Loop: Header=BB0_2003 Depth=1
	s_add_co_i32 s10, s8, 0x287
	s_mov_b32 s11, s9
	s_delay_alu instid0(SALU_CYCLE_1)
	v_mov_b64_e32 v[2:3], s[10:11]
	s_wait_xcnt 0x0
	global_store_b64 v0, v[2:3], s[6:7] scope:SCOPE_SYS
.LBB0_3298:                             ;   Parent Loop BB0_2003 Depth=1
                                        ; =>  This Inner Loop Header: Depth=2
	global_load_b64 v[2:3], v0, s[4:5] scope:SCOPE_SYS
	s_wait_loadcnt 0x0
	v_cmp_ne_u64_e32 vcc_lo, s[10:11], v[2:3]
	s_cbranch_vccnz .LBB0_3298
; %bb.3299:                             ;   in Loop: Header=BB0_2003 Depth=1
	s_add_co_i32 s10, s8, 0x288
	s_mov_b32 s11, s9
	s_delay_alu instid0(SALU_CYCLE_1)
	v_mov_b64_e32 v[2:3], s[10:11]
	s_wait_xcnt 0x0
	global_store_b64 v0, v[2:3], s[6:7] scope:SCOPE_SYS
.LBB0_3300:                             ;   Parent Loop BB0_2003 Depth=1
                                        ; =>  This Inner Loop Header: Depth=2
	global_load_b64 v[2:3], v0, s[4:5] scope:SCOPE_SYS
	s_wait_loadcnt 0x0
	v_cmp_ne_u64_e32 vcc_lo, s[10:11], v[2:3]
	s_cbranch_vccnz .LBB0_3300
; %bb.3301:                             ;   in Loop: Header=BB0_2003 Depth=1
	s_add_co_i32 s10, s8, 0x289
	s_mov_b32 s11, s9
	s_delay_alu instid0(SALU_CYCLE_1)
	v_mov_b64_e32 v[2:3], s[10:11]
	s_wait_xcnt 0x0
	global_store_b64 v0, v[2:3], s[6:7] scope:SCOPE_SYS
.LBB0_3302:                             ;   Parent Loop BB0_2003 Depth=1
                                        ; =>  This Inner Loop Header: Depth=2
	global_load_b64 v[2:3], v0, s[4:5] scope:SCOPE_SYS
	s_wait_loadcnt 0x0
	v_cmp_ne_u64_e32 vcc_lo, s[10:11], v[2:3]
	s_cbranch_vccnz .LBB0_3302
; %bb.3303:                             ;   in Loop: Header=BB0_2003 Depth=1
	s_add_co_i32 s10, s8, 0x28a
	s_mov_b32 s11, s9
	s_delay_alu instid0(SALU_CYCLE_1)
	v_mov_b64_e32 v[2:3], s[10:11]
	s_wait_xcnt 0x0
	global_store_b64 v0, v[2:3], s[6:7] scope:SCOPE_SYS
.LBB0_3304:                             ;   Parent Loop BB0_2003 Depth=1
                                        ; =>  This Inner Loop Header: Depth=2
	global_load_b64 v[2:3], v0, s[4:5] scope:SCOPE_SYS
	s_wait_loadcnt 0x0
	v_cmp_ne_u64_e32 vcc_lo, s[10:11], v[2:3]
	s_cbranch_vccnz .LBB0_3304
; %bb.3305:                             ;   in Loop: Header=BB0_2003 Depth=1
	s_add_co_i32 s10, s8, 0x28b
	s_mov_b32 s11, s9
	s_delay_alu instid0(SALU_CYCLE_1)
	v_mov_b64_e32 v[2:3], s[10:11]
	s_wait_xcnt 0x0
	global_store_b64 v0, v[2:3], s[6:7] scope:SCOPE_SYS
.LBB0_3306:                             ;   Parent Loop BB0_2003 Depth=1
                                        ; =>  This Inner Loop Header: Depth=2
	global_load_b64 v[2:3], v0, s[4:5] scope:SCOPE_SYS
	s_wait_loadcnt 0x0
	v_cmp_ne_u64_e32 vcc_lo, s[10:11], v[2:3]
	s_cbranch_vccnz .LBB0_3306
; %bb.3307:                             ;   in Loop: Header=BB0_2003 Depth=1
	s_add_co_i32 s10, s8, 0x28c
	s_mov_b32 s11, s9
	s_delay_alu instid0(SALU_CYCLE_1)
	v_mov_b64_e32 v[2:3], s[10:11]
	s_wait_xcnt 0x0
	global_store_b64 v0, v[2:3], s[6:7] scope:SCOPE_SYS
.LBB0_3308:                             ;   Parent Loop BB0_2003 Depth=1
                                        ; =>  This Inner Loop Header: Depth=2
	global_load_b64 v[2:3], v0, s[4:5] scope:SCOPE_SYS
	s_wait_loadcnt 0x0
	v_cmp_ne_u64_e32 vcc_lo, s[10:11], v[2:3]
	s_cbranch_vccnz .LBB0_3308
; %bb.3309:                             ;   in Loop: Header=BB0_2003 Depth=1
	s_add_co_i32 s10, s8, 0x28d
	s_mov_b32 s11, s9
	s_delay_alu instid0(SALU_CYCLE_1)
	v_mov_b64_e32 v[2:3], s[10:11]
	s_wait_xcnt 0x0
	global_store_b64 v0, v[2:3], s[6:7] scope:SCOPE_SYS
.LBB0_3310:                             ;   Parent Loop BB0_2003 Depth=1
                                        ; =>  This Inner Loop Header: Depth=2
	global_load_b64 v[2:3], v0, s[4:5] scope:SCOPE_SYS
	s_wait_loadcnt 0x0
	v_cmp_ne_u64_e32 vcc_lo, s[10:11], v[2:3]
	s_cbranch_vccnz .LBB0_3310
; %bb.3311:                             ;   in Loop: Header=BB0_2003 Depth=1
	s_add_co_i32 s10, s8, 0x28e
	s_mov_b32 s11, s9
	s_delay_alu instid0(SALU_CYCLE_1)
	v_mov_b64_e32 v[2:3], s[10:11]
	s_wait_xcnt 0x0
	global_store_b64 v0, v[2:3], s[6:7] scope:SCOPE_SYS
.LBB0_3312:                             ;   Parent Loop BB0_2003 Depth=1
                                        ; =>  This Inner Loop Header: Depth=2
	global_load_b64 v[2:3], v0, s[4:5] scope:SCOPE_SYS
	s_wait_loadcnt 0x0
	v_cmp_ne_u64_e32 vcc_lo, s[10:11], v[2:3]
	s_cbranch_vccnz .LBB0_3312
; %bb.3313:                             ;   in Loop: Header=BB0_2003 Depth=1
	s_add_co_i32 s10, s8, 0x28f
	s_mov_b32 s11, s9
	s_delay_alu instid0(SALU_CYCLE_1)
	v_mov_b64_e32 v[2:3], s[10:11]
	s_wait_xcnt 0x0
	global_store_b64 v0, v[2:3], s[6:7] scope:SCOPE_SYS
.LBB0_3314:                             ;   Parent Loop BB0_2003 Depth=1
                                        ; =>  This Inner Loop Header: Depth=2
	global_load_b64 v[2:3], v0, s[4:5] scope:SCOPE_SYS
	s_wait_loadcnt 0x0
	v_cmp_ne_u64_e32 vcc_lo, s[10:11], v[2:3]
	s_cbranch_vccnz .LBB0_3314
; %bb.3315:                             ;   in Loop: Header=BB0_2003 Depth=1
	s_add_co_i32 s10, s8, 0x290
	s_mov_b32 s11, s9
	s_delay_alu instid0(SALU_CYCLE_1)
	v_mov_b64_e32 v[2:3], s[10:11]
	s_wait_xcnt 0x0
	global_store_b64 v0, v[2:3], s[6:7] scope:SCOPE_SYS
.LBB0_3316:                             ;   Parent Loop BB0_2003 Depth=1
                                        ; =>  This Inner Loop Header: Depth=2
	global_load_b64 v[2:3], v0, s[4:5] scope:SCOPE_SYS
	s_wait_loadcnt 0x0
	v_cmp_ne_u64_e32 vcc_lo, s[10:11], v[2:3]
	s_cbranch_vccnz .LBB0_3316
; %bb.3317:                             ;   in Loop: Header=BB0_2003 Depth=1
	s_add_co_i32 s10, s8, 0x291
	s_mov_b32 s11, s9
	s_delay_alu instid0(SALU_CYCLE_1)
	v_mov_b64_e32 v[2:3], s[10:11]
	s_wait_xcnt 0x0
	global_store_b64 v0, v[2:3], s[6:7] scope:SCOPE_SYS
.LBB0_3318:                             ;   Parent Loop BB0_2003 Depth=1
                                        ; =>  This Inner Loop Header: Depth=2
	global_load_b64 v[2:3], v0, s[4:5] scope:SCOPE_SYS
	s_wait_loadcnt 0x0
	v_cmp_ne_u64_e32 vcc_lo, s[10:11], v[2:3]
	s_cbranch_vccnz .LBB0_3318
; %bb.3319:                             ;   in Loop: Header=BB0_2003 Depth=1
	s_add_co_i32 s10, s8, 0x292
	s_mov_b32 s11, s9
	s_delay_alu instid0(SALU_CYCLE_1)
	v_mov_b64_e32 v[2:3], s[10:11]
	s_wait_xcnt 0x0
	global_store_b64 v0, v[2:3], s[6:7] scope:SCOPE_SYS
.LBB0_3320:                             ;   Parent Loop BB0_2003 Depth=1
                                        ; =>  This Inner Loop Header: Depth=2
	global_load_b64 v[2:3], v0, s[4:5] scope:SCOPE_SYS
	s_wait_loadcnt 0x0
	v_cmp_ne_u64_e32 vcc_lo, s[10:11], v[2:3]
	s_cbranch_vccnz .LBB0_3320
; %bb.3321:                             ;   in Loop: Header=BB0_2003 Depth=1
	s_add_co_i32 s10, s8, 0x293
	s_mov_b32 s11, s9
	s_delay_alu instid0(SALU_CYCLE_1)
	v_mov_b64_e32 v[2:3], s[10:11]
	s_wait_xcnt 0x0
	global_store_b64 v0, v[2:3], s[6:7] scope:SCOPE_SYS
.LBB0_3322:                             ;   Parent Loop BB0_2003 Depth=1
                                        ; =>  This Inner Loop Header: Depth=2
	global_load_b64 v[2:3], v0, s[4:5] scope:SCOPE_SYS
	s_wait_loadcnt 0x0
	v_cmp_ne_u64_e32 vcc_lo, s[10:11], v[2:3]
	s_cbranch_vccnz .LBB0_3322
; %bb.3323:                             ;   in Loop: Header=BB0_2003 Depth=1
	s_add_co_i32 s10, s8, 0x294
	s_mov_b32 s11, s9
	s_delay_alu instid0(SALU_CYCLE_1)
	v_mov_b64_e32 v[2:3], s[10:11]
	s_wait_xcnt 0x0
	global_store_b64 v0, v[2:3], s[6:7] scope:SCOPE_SYS
.LBB0_3324:                             ;   Parent Loop BB0_2003 Depth=1
                                        ; =>  This Inner Loop Header: Depth=2
	global_load_b64 v[2:3], v0, s[4:5] scope:SCOPE_SYS
	s_wait_loadcnt 0x0
	v_cmp_ne_u64_e32 vcc_lo, s[10:11], v[2:3]
	s_cbranch_vccnz .LBB0_3324
; %bb.3325:                             ;   in Loop: Header=BB0_2003 Depth=1
	s_add_co_i32 s10, s8, 0x295
	s_mov_b32 s11, s9
	s_delay_alu instid0(SALU_CYCLE_1)
	v_mov_b64_e32 v[2:3], s[10:11]
	s_wait_xcnt 0x0
	global_store_b64 v0, v[2:3], s[6:7] scope:SCOPE_SYS
.LBB0_3326:                             ;   Parent Loop BB0_2003 Depth=1
                                        ; =>  This Inner Loop Header: Depth=2
	global_load_b64 v[2:3], v0, s[4:5] scope:SCOPE_SYS
	s_wait_loadcnt 0x0
	v_cmp_ne_u64_e32 vcc_lo, s[10:11], v[2:3]
	s_cbranch_vccnz .LBB0_3326
; %bb.3327:                             ;   in Loop: Header=BB0_2003 Depth=1
	s_add_co_i32 s10, s8, 0x296
	s_mov_b32 s11, s9
	s_delay_alu instid0(SALU_CYCLE_1)
	v_mov_b64_e32 v[2:3], s[10:11]
	s_wait_xcnt 0x0
	global_store_b64 v0, v[2:3], s[6:7] scope:SCOPE_SYS
.LBB0_3328:                             ;   Parent Loop BB0_2003 Depth=1
                                        ; =>  This Inner Loop Header: Depth=2
	global_load_b64 v[2:3], v0, s[4:5] scope:SCOPE_SYS
	s_wait_loadcnt 0x0
	v_cmp_ne_u64_e32 vcc_lo, s[10:11], v[2:3]
	s_cbranch_vccnz .LBB0_3328
; %bb.3329:                             ;   in Loop: Header=BB0_2003 Depth=1
	s_add_co_i32 s10, s8, 0x297
	s_mov_b32 s11, s9
	s_delay_alu instid0(SALU_CYCLE_1)
	v_mov_b64_e32 v[2:3], s[10:11]
	s_wait_xcnt 0x0
	global_store_b64 v0, v[2:3], s[6:7] scope:SCOPE_SYS
.LBB0_3330:                             ;   Parent Loop BB0_2003 Depth=1
                                        ; =>  This Inner Loop Header: Depth=2
	global_load_b64 v[2:3], v0, s[4:5] scope:SCOPE_SYS
	s_wait_loadcnt 0x0
	v_cmp_ne_u64_e32 vcc_lo, s[10:11], v[2:3]
	s_cbranch_vccnz .LBB0_3330
; %bb.3331:                             ;   in Loop: Header=BB0_2003 Depth=1
	s_add_co_i32 s10, s8, 0x298
	s_mov_b32 s11, s9
	s_delay_alu instid0(SALU_CYCLE_1)
	v_mov_b64_e32 v[2:3], s[10:11]
	s_wait_xcnt 0x0
	global_store_b64 v0, v[2:3], s[6:7] scope:SCOPE_SYS
.LBB0_3332:                             ;   Parent Loop BB0_2003 Depth=1
                                        ; =>  This Inner Loop Header: Depth=2
	global_load_b64 v[2:3], v0, s[4:5] scope:SCOPE_SYS
	s_wait_loadcnt 0x0
	v_cmp_ne_u64_e32 vcc_lo, s[10:11], v[2:3]
	s_cbranch_vccnz .LBB0_3332
; %bb.3333:                             ;   in Loop: Header=BB0_2003 Depth=1
	s_add_co_i32 s10, s8, 0x299
	s_mov_b32 s11, s9
	s_delay_alu instid0(SALU_CYCLE_1)
	v_mov_b64_e32 v[2:3], s[10:11]
	s_wait_xcnt 0x0
	global_store_b64 v0, v[2:3], s[6:7] scope:SCOPE_SYS
.LBB0_3334:                             ;   Parent Loop BB0_2003 Depth=1
                                        ; =>  This Inner Loop Header: Depth=2
	global_load_b64 v[2:3], v0, s[4:5] scope:SCOPE_SYS
	s_wait_loadcnt 0x0
	v_cmp_ne_u64_e32 vcc_lo, s[10:11], v[2:3]
	s_cbranch_vccnz .LBB0_3334
; %bb.3335:                             ;   in Loop: Header=BB0_2003 Depth=1
	s_add_co_i32 s10, s8, 0x29a
	s_mov_b32 s11, s9
	s_delay_alu instid0(SALU_CYCLE_1)
	v_mov_b64_e32 v[2:3], s[10:11]
	s_wait_xcnt 0x0
	global_store_b64 v0, v[2:3], s[6:7] scope:SCOPE_SYS
.LBB0_3336:                             ;   Parent Loop BB0_2003 Depth=1
                                        ; =>  This Inner Loop Header: Depth=2
	global_load_b64 v[2:3], v0, s[4:5] scope:SCOPE_SYS
	s_wait_loadcnt 0x0
	v_cmp_ne_u64_e32 vcc_lo, s[10:11], v[2:3]
	s_cbranch_vccnz .LBB0_3336
; %bb.3337:                             ;   in Loop: Header=BB0_2003 Depth=1
	s_add_co_i32 s10, s8, 0x29b
	s_mov_b32 s11, s9
	s_delay_alu instid0(SALU_CYCLE_1)
	v_mov_b64_e32 v[2:3], s[10:11]
	s_wait_xcnt 0x0
	global_store_b64 v0, v[2:3], s[6:7] scope:SCOPE_SYS
.LBB0_3338:                             ;   Parent Loop BB0_2003 Depth=1
                                        ; =>  This Inner Loop Header: Depth=2
	global_load_b64 v[2:3], v0, s[4:5] scope:SCOPE_SYS
	s_wait_loadcnt 0x0
	v_cmp_ne_u64_e32 vcc_lo, s[10:11], v[2:3]
	s_cbranch_vccnz .LBB0_3338
; %bb.3339:                             ;   in Loop: Header=BB0_2003 Depth=1
	s_add_co_i32 s10, s8, 0x29c
	s_mov_b32 s11, s9
	s_delay_alu instid0(SALU_CYCLE_1)
	v_mov_b64_e32 v[2:3], s[10:11]
	s_wait_xcnt 0x0
	global_store_b64 v0, v[2:3], s[6:7] scope:SCOPE_SYS
.LBB0_3340:                             ;   Parent Loop BB0_2003 Depth=1
                                        ; =>  This Inner Loop Header: Depth=2
	global_load_b64 v[2:3], v0, s[4:5] scope:SCOPE_SYS
	s_wait_loadcnt 0x0
	v_cmp_ne_u64_e32 vcc_lo, s[10:11], v[2:3]
	s_cbranch_vccnz .LBB0_3340
; %bb.3341:                             ;   in Loop: Header=BB0_2003 Depth=1
	s_add_co_i32 s10, s8, 0x29d
	s_mov_b32 s11, s9
	s_delay_alu instid0(SALU_CYCLE_1)
	v_mov_b64_e32 v[2:3], s[10:11]
	s_wait_xcnt 0x0
	global_store_b64 v0, v[2:3], s[6:7] scope:SCOPE_SYS
.LBB0_3342:                             ;   Parent Loop BB0_2003 Depth=1
                                        ; =>  This Inner Loop Header: Depth=2
	global_load_b64 v[2:3], v0, s[4:5] scope:SCOPE_SYS
	s_wait_loadcnt 0x0
	v_cmp_ne_u64_e32 vcc_lo, s[10:11], v[2:3]
	s_cbranch_vccnz .LBB0_3342
; %bb.3343:                             ;   in Loop: Header=BB0_2003 Depth=1
	s_add_co_i32 s10, s8, 0x29e
	s_mov_b32 s11, s9
	s_delay_alu instid0(SALU_CYCLE_1)
	v_mov_b64_e32 v[2:3], s[10:11]
	s_wait_xcnt 0x0
	global_store_b64 v0, v[2:3], s[6:7] scope:SCOPE_SYS
.LBB0_3344:                             ;   Parent Loop BB0_2003 Depth=1
                                        ; =>  This Inner Loop Header: Depth=2
	global_load_b64 v[2:3], v0, s[4:5] scope:SCOPE_SYS
	s_wait_loadcnt 0x0
	v_cmp_ne_u64_e32 vcc_lo, s[10:11], v[2:3]
	s_cbranch_vccnz .LBB0_3344
; %bb.3345:                             ;   in Loop: Header=BB0_2003 Depth=1
	s_add_co_i32 s10, s8, 0x29f
	s_mov_b32 s11, s9
	s_delay_alu instid0(SALU_CYCLE_1)
	v_mov_b64_e32 v[2:3], s[10:11]
	s_wait_xcnt 0x0
	global_store_b64 v0, v[2:3], s[6:7] scope:SCOPE_SYS
.LBB0_3346:                             ;   Parent Loop BB0_2003 Depth=1
                                        ; =>  This Inner Loop Header: Depth=2
	global_load_b64 v[2:3], v0, s[4:5] scope:SCOPE_SYS
	s_wait_loadcnt 0x0
	v_cmp_ne_u64_e32 vcc_lo, s[10:11], v[2:3]
	s_cbranch_vccnz .LBB0_3346
; %bb.3347:                             ;   in Loop: Header=BB0_2003 Depth=1
	s_add_co_i32 s10, s8, 0x2a0
	s_mov_b32 s11, s9
	s_delay_alu instid0(SALU_CYCLE_1)
	v_mov_b64_e32 v[2:3], s[10:11]
	s_wait_xcnt 0x0
	global_store_b64 v0, v[2:3], s[6:7] scope:SCOPE_SYS
.LBB0_3348:                             ;   Parent Loop BB0_2003 Depth=1
                                        ; =>  This Inner Loop Header: Depth=2
	global_load_b64 v[2:3], v0, s[4:5] scope:SCOPE_SYS
	s_wait_loadcnt 0x0
	v_cmp_ne_u64_e32 vcc_lo, s[10:11], v[2:3]
	s_cbranch_vccnz .LBB0_3348
; %bb.3349:                             ;   in Loop: Header=BB0_2003 Depth=1
	s_add_co_i32 s10, s8, 0x2a1
	s_mov_b32 s11, s9
	s_delay_alu instid0(SALU_CYCLE_1)
	v_mov_b64_e32 v[2:3], s[10:11]
	s_wait_xcnt 0x0
	global_store_b64 v0, v[2:3], s[6:7] scope:SCOPE_SYS
.LBB0_3350:                             ;   Parent Loop BB0_2003 Depth=1
                                        ; =>  This Inner Loop Header: Depth=2
	global_load_b64 v[2:3], v0, s[4:5] scope:SCOPE_SYS
	s_wait_loadcnt 0x0
	v_cmp_ne_u64_e32 vcc_lo, s[10:11], v[2:3]
	s_cbranch_vccnz .LBB0_3350
; %bb.3351:                             ;   in Loop: Header=BB0_2003 Depth=1
	s_add_co_i32 s10, s8, 0x2a2
	s_mov_b32 s11, s9
	s_delay_alu instid0(SALU_CYCLE_1)
	v_mov_b64_e32 v[2:3], s[10:11]
	s_wait_xcnt 0x0
	global_store_b64 v0, v[2:3], s[6:7] scope:SCOPE_SYS
.LBB0_3352:                             ;   Parent Loop BB0_2003 Depth=1
                                        ; =>  This Inner Loop Header: Depth=2
	global_load_b64 v[2:3], v0, s[4:5] scope:SCOPE_SYS
	s_wait_loadcnt 0x0
	v_cmp_ne_u64_e32 vcc_lo, s[10:11], v[2:3]
	s_cbranch_vccnz .LBB0_3352
; %bb.3353:                             ;   in Loop: Header=BB0_2003 Depth=1
	s_add_co_i32 s10, s8, 0x2a3
	s_mov_b32 s11, s9
	s_delay_alu instid0(SALU_CYCLE_1)
	v_mov_b64_e32 v[2:3], s[10:11]
	s_wait_xcnt 0x0
	global_store_b64 v0, v[2:3], s[6:7] scope:SCOPE_SYS
.LBB0_3354:                             ;   Parent Loop BB0_2003 Depth=1
                                        ; =>  This Inner Loop Header: Depth=2
	global_load_b64 v[2:3], v0, s[4:5] scope:SCOPE_SYS
	s_wait_loadcnt 0x0
	v_cmp_ne_u64_e32 vcc_lo, s[10:11], v[2:3]
	s_cbranch_vccnz .LBB0_3354
; %bb.3355:                             ;   in Loop: Header=BB0_2003 Depth=1
	s_add_co_i32 s10, s8, 0x2a4
	s_mov_b32 s11, s9
	s_delay_alu instid0(SALU_CYCLE_1)
	v_mov_b64_e32 v[2:3], s[10:11]
	s_wait_xcnt 0x0
	global_store_b64 v0, v[2:3], s[6:7] scope:SCOPE_SYS
.LBB0_3356:                             ;   Parent Loop BB0_2003 Depth=1
                                        ; =>  This Inner Loop Header: Depth=2
	global_load_b64 v[2:3], v0, s[4:5] scope:SCOPE_SYS
	s_wait_loadcnt 0x0
	v_cmp_ne_u64_e32 vcc_lo, s[10:11], v[2:3]
	s_cbranch_vccnz .LBB0_3356
; %bb.3357:                             ;   in Loop: Header=BB0_2003 Depth=1
	s_add_co_i32 s10, s8, 0x2a5
	s_mov_b32 s11, s9
	s_delay_alu instid0(SALU_CYCLE_1)
	v_mov_b64_e32 v[2:3], s[10:11]
	s_wait_xcnt 0x0
	global_store_b64 v0, v[2:3], s[6:7] scope:SCOPE_SYS
.LBB0_3358:                             ;   Parent Loop BB0_2003 Depth=1
                                        ; =>  This Inner Loop Header: Depth=2
	global_load_b64 v[2:3], v0, s[4:5] scope:SCOPE_SYS
	s_wait_loadcnt 0x0
	v_cmp_ne_u64_e32 vcc_lo, s[10:11], v[2:3]
	s_cbranch_vccnz .LBB0_3358
; %bb.3359:                             ;   in Loop: Header=BB0_2003 Depth=1
	s_add_co_i32 s10, s8, 0x2a6
	s_mov_b32 s11, s9
	s_delay_alu instid0(SALU_CYCLE_1)
	v_mov_b64_e32 v[2:3], s[10:11]
	s_wait_xcnt 0x0
	global_store_b64 v0, v[2:3], s[6:7] scope:SCOPE_SYS
.LBB0_3360:                             ;   Parent Loop BB0_2003 Depth=1
                                        ; =>  This Inner Loop Header: Depth=2
	global_load_b64 v[2:3], v0, s[4:5] scope:SCOPE_SYS
	s_wait_loadcnt 0x0
	v_cmp_ne_u64_e32 vcc_lo, s[10:11], v[2:3]
	s_cbranch_vccnz .LBB0_3360
; %bb.3361:                             ;   in Loop: Header=BB0_2003 Depth=1
	s_add_co_i32 s10, s8, 0x2a7
	s_mov_b32 s11, s9
	s_delay_alu instid0(SALU_CYCLE_1)
	v_mov_b64_e32 v[2:3], s[10:11]
	s_wait_xcnt 0x0
	global_store_b64 v0, v[2:3], s[6:7] scope:SCOPE_SYS
.LBB0_3362:                             ;   Parent Loop BB0_2003 Depth=1
                                        ; =>  This Inner Loop Header: Depth=2
	global_load_b64 v[2:3], v0, s[4:5] scope:SCOPE_SYS
	s_wait_loadcnt 0x0
	v_cmp_ne_u64_e32 vcc_lo, s[10:11], v[2:3]
	s_cbranch_vccnz .LBB0_3362
; %bb.3363:                             ;   in Loop: Header=BB0_2003 Depth=1
	s_add_co_i32 s10, s8, 0x2a8
	s_mov_b32 s11, s9
	s_delay_alu instid0(SALU_CYCLE_1)
	v_mov_b64_e32 v[2:3], s[10:11]
	s_wait_xcnt 0x0
	global_store_b64 v0, v[2:3], s[6:7] scope:SCOPE_SYS
.LBB0_3364:                             ;   Parent Loop BB0_2003 Depth=1
                                        ; =>  This Inner Loop Header: Depth=2
	global_load_b64 v[2:3], v0, s[4:5] scope:SCOPE_SYS
	s_wait_loadcnt 0x0
	v_cmp_ne_u64_e32 vcc_lo, s[10:11], v[2:3]
	s_cbranch_vccnz .LBB0_3364
; %bb.3365:                             ;   in Loop: Header=BB0_2003 Depth=1
	s_add_co_i32 s10, s8, 0x2a9
	s_mov_b32 s11, s9
	s_delay_alu instid0(SALU_CYCLE_1)
	v_mov_b64_e32 v[2:3], s[10:11]
	s_wait_xcnt 0x0
	global_store_b64 v0, v[2:3], s[6:7] scope:SCOPE_SYS
.LBB0_3366:                             ;   Parent Loop BB0_2003 Depth=1
                                        ; =>  This Inner Loop Header: Depth=2
	global_load_b64 v[2:3], v0, s[4:5] scope:SCOPE_SYS
	s_wait_loadcnt 0x0
	v_cmp_ne_u64_e32 vcc_lo, s[10:11], v[2:3]
	s_cbranch_vccnz .LBB0_3366
; %bb.3367:                             ;   in Loop: Header=BB0_2003 Depth=1
	s_add_co_i32 s10, s8, 0x2aa
	s_mov_b32 s11, s9
	s_delay_alu instid0(SALU_CYCLE_1)
	v_mov_b64_e32 v[2:3], s[10:11]
	s_wait_xcnt 0x0
	global_store_b64 v0, v[2:3], s[6:7] scope:SCOPE_SYS
.LBB0_3368:                             ;   Parent Loop BB0_2003 Depth=1
                                        ; =>  This Inner Loop Header: Depth=2
	global_load_b64 v[2:3], v0, s[4:5] scope:SCOPE_SYS
	s_wait_loadcnt 0x0
	v_cmp_ne_u64_e32 vcc_lo, s[10:11], v[2:3]
	s_cbranch_vccnz .LBB0_3368
; %bb.3369:                             ;   in Loop: Header=BB0_2003 Depth=1
	s_add_co_i32 s10, s8, 0x2ab
	s_mov_b32 s11, s9
	s_delay_alu instid0(SALU_CYCLE_1)
	v_mov_b64_e32 v[2:3], s[10:11]
	s_wait_xcnt 0x0
	global_store_b64 v0, v[2:3], s[6:7] scope:SCOPE_SYS
.LBB0_3370:                             ;   Parent Loop BB0_2003 Depth=1
                                        ; =>  This Inner Loop Header: Depth=2
	global_load_b64 v[2:3], v0, s[4:5] scope:SCOPE_SYS
	s_wait_loadcnt 0x0
	v_cmp_ne_u64_e32 vcc_lo, s[10:11], v[2:3]
	s_cbranch_vccnz .LBB0_3370
; %bb.3371:                             ;   in Loop: Header=BB0_2003 Depth=1
	s_add_co_i32 s10, s8, 0x2ac
	s_mov_b32 s11, s9
	s_delay_alu instid0(SALU_CYCLE_1)
	v_mov_b64_e32 v[2:3], s[10:11]
	s_wait_xcnt 0x0
	global_store_b64 v0, v[2:3], s[6:7] scope:SCOPE_SYS
.LBB0_3372:                             ;   Parent Loop BB0_2003 Depth=1
                                        ; =>  This Inner Loop Header: Depth=2
	global_load_b64 v[2:3], v0, s[4:5] scope:SCOPE_SYS
	s_wait_loadcnt 0x0
	v_cmp_ne_u64_e32 vcc_lo, s[10:11], v[2:3]
	s_cbranch_vccnz .LBB0_3372
; %bb.3373:                             ;   in Loop: Header=BB0_2003 Depth=1
	s_add_co_i32 s10, s8, 0x2ad
	s_mov_b32 s11, s9
	s_delay_alu instid0(SALU_CYCLE_1)
	v_mov_b64_e32 v[2:3], s[10:11]
	s_wait_xcnt 0x0
	global_store_b64 v0, v[2:3], s[6:7] scope:SCOPE_SYS
.LBB0_3374:                             ;   Parent Loop BB0_2003 Depth=1
                                        ; =>  This Inner Loop Header: Depth=2
	global_load_b64 v[2:3], v0, s[4:5] scope:SCOPE_SYS
	s_wait_loadcnt 0x0
	v_cmp_ne_u64_e32 vcc_lo, s[10:11], v[2:3]
	s_cbranch_vccnz .LBB0_3374
; %bb.3375:                             ;   in Loop: Header=BB0_2003 Depth=1
	s_add_co_i32 s10, s8, 0x2ae
	s_mov_b32 s11, s9
	s_delay_alu instid0(SALU_CYCLE_1)
	v_mov_b64_e32 v[2:3], s[10:11]
	s_wait_xcnt 0x0
	global_store_b64 v0, v[2:3], s[6:7] scope:SCOPE_SYS
.LBB0_3376:                             ;   Parent Loop BB0_2003 Depth=1
                                        ; =>  This Inner Loop Header: Depth=2
	global_load_b64 v[2:3], v0, s[4:5] scope:SCOPE_SYS
	s_wait_loadcnt 0x0
	v_cmp_ne_u64_e32 vcc_lo, s[10:11], v[2:3]
	s_cbranch_vccnz .LBB0_3376
; %bb.3377:                             ;   in Loop: Header=BB0_2003 Depth=1
	s_add_co_i32 s10, s8, 0x2af
	s_mov_b32 s11, s9
	s_delay_alu instid0(SALU_CYCLE_1)
	v_mov_b64_e32 v[2:3], s[10:11]
	s_wait_xcnt 0x0
	global_store_b64 v0, v[2:3], s[6:7] scope:SCOPE_SYS
.LBB0_3378:                             ;   Parent Loop BB0_2003 Depth=1
                                        ; =>  This Inner Loop Header: Depth=2
	global_load_b64 v[2:3], v0, s[4:5] scope:SCOPE_SYS
	s_wait_loadcnt 0x0
	v_cmp_ne_u64_e32 vcc_lo, s[10:11], v[2:3]
	s_cbranch_vccnz .LBB0_3378
; %bb.3379:                             ;   in Loop: Header=BB0_2003 Depth=1
	s_add_co_i32 s10, s8, 0x2b0
	s_mov_b32 s11, s9
	s_delay_alu instid0(SALU_CYCLE_1)
	v_mov_b64_e32 v[2:3], s[10:11]
	s_wait_xcnt 0x0
	global_store_b64 v0, v[2:3], s[6:7] scope:SCOPE_SYS
.LBB0_3380:                             ;   Parent Loop BB0_2003 Depth=1
                                        ; =>  This Inner Loop Header: Depth=2
	global_load_b64 v[2:3], v0, s[4:5] scope:SCOPE_SYS
	s_wait_loadcnt 0x0
	v_cmp_ne_u64_e32 vcc_lo, s[10:11], v[2:3]
	s_cbranch_vccnz .LBB0_3380
; %bb.3381:                             ;   in Loop: Header=BB0_2003 Depth=1
	s_add_co_i32 s10, s8, 0x2b1
	s_mov_b32 s11, s9
	s_delay_alu instid0(SALU_CYCLE_1)
	v_mov_b64_e32 v[2:3], s[10:11]
	s_wait_xcnt 0x0
	global_store_b64 v0, v[2:3], s[6:7] scope:SCOPE_SYS
.LBB0_3382:                             ;   Parent Loop BB0_2003 Depth=1
                                        ; =>  This Inner Loop Header: Depth=2
	global_load_b64 v[2:3], v0, s[4:5] scope:SCOPE_SYS
	s_wait_loadcnt 0x0
	v_cmp_ne_u64_e32 vcc_lo, s[10:11], v[2:3]
	s_cbranch_vccnz .LBB0_3382
; %bb.3383:                             ;   in Loop: Header=BB0_2003 Depth=1
	s_add_co_i32 s10, s8, 0x2b2
	s_mov_b32 s11, s9
	s_delay_alu instid0(SALU_CYCLE_1)
	v_mov_b64_e32 v[2:3], s[10:11]
	s_wait_xcnt 0x0
	global_store_b64 v0, v[2:3], s[6:7] scope:SCOPE_SYS
.LBB0_3384:                             ;   Parent Loop BB0_2003 Depth=1
                                        ; =>  This Inner Loop Header: Depth=2
	global_load_b64 v[2:3], v0, s[4:5] scope:SCOPE_SYS
	s_wait_loadcnt 0x0
	v_cmp_ne_u64_e32 vcc_lo, s[10:11], v[2:3]
	s_cbranch_vccnz .LBB0_3384
; %bb.3385:                             ;   in Loop: Header=BB0_2003 Depth=1
	s_add_co_i32 s10, s8, 0x2b3
	s_mov_b32 s11, s9
	s_delay_alu instid0(SALU_CYCLE_1)
	v_mov_b64_e32 v[2:3], s[10:11]
	s_wait_xcnt 0x0
	global_store_b64 v0, v[2:3], s[6:7] scope:SCOPE_SYS
.LBB0_3386:                             ;   Parent Loop BB0_2003 Depth=1
                                        ; =>  This Inner Loop Header: Depth=2
	global_load_b64 v[2:3], v0, s[4:5] scope:SCOPE_SYS
	s_wait_loadcnt 0x0
	v_cmp_ne_u64_e32 vcc_lo, s[10:11], v[2:3]
	s_cbranch_vccnz .LBB0_3386
; %bb.3387:                             ;   in Loop: Header=BB0_2003 Depth=1
	s_add_co_i32 s10, s8, 0x2b4
	s_mov_b32 s11, s9
	s_delay_alu instid0(SALU_CYCLE_1)
	v_mov_b64_e32 v[2:3], s[10:11]
	s_wait_xcnt 0x0
	global_store_b64 v0, v[2:3], s[6:7] scope:SCOPE_SYS
.LBB0_3388:                             ;   Parent Loop BB0_2003 Depth=1
                                        ; =>  This Inner Loop Header: Depth=2
	global_load_b64 v[2:3], v0, s[4:5] scope:SCOPE_SYS
	s_wait_loadcnt 0x0
	v_cmp_ne_u64_e32 vcc_lo, s[10:11], v[2:3]
	s_cbranch_vccnz .LBB0_3388
; %bb.3389:                             ;   in Loop: Header=BB0_2003 Depth=1
	s_add_co_i32 s10, s8, 0x2b5
	s_mov_b32 s11, s9
	s_delay_alu instid0(SALU_CYCLE_1)
	v_mov_b64_e32 v[2:3], s[10:11]
	s_wait_xcnt 0x0
	global_store_b64 v0, v[2:3], s[6:7] scope:SCOPE_SYS
.LBB0_3390:                             ;   Parent Loop BB0_2003 Depth=1
                                        ; =>  This Inner Loop Header: Depth=2
	global_load_b64 v[2:3], v0, s[4:5] scope:SCOPE_SYS
	s_wait_loadcnt 0x0
	v_cmp_ne_u64_e32 vcc_lo, s[10:11], v[2:3]
	s_cbranch_vccnz .LBB0_3390
; %bb.3391:                             ;   in Loop: Header=BB0_2003 Depth=1
	s_add_co_i32 s10, s8, 0x2b6
	s_mov_b32 s11, s9
	s_delay_alu instid0(SALU_CYCLE_1)
	v_mov_b64_e32 v[2:3], s[10:11]
	s_wait_xcnt 0x0
	global_store_b64 v0, v[2:3], s[6:7] scope:SCOPE_SYS
.LBB0_3392:                             ;   Parent Loop BB0_2003 Depth=1
                                        ; =>  This Inner Loop Header: Depth=2
	global_load_b64 v[2:3], v0, s[4:5] scope:SCOPE_SYS
	s_wait_loadcnt 0x0
	v_cmp_ne_u64_e32 vcc_lo, s[10:11], v[2:3]
	s_cbranch_vccnz .LBB0_3392
; %bb.3393:                             ;   in Loop: Header=BB0_2003 Depth=1
	s_add_co_i32 s10, s8, 0x2b7
	s_mov_b32 s11, s9
	s_delay_alu instid0(SALU_CYCLE_1)
	v_mov_b64_e32 v[2:3], s[10:11]
	s_wait_xcnt 0x0
	global_store_b64 v0, v[2:3], s[6:7] scope:SCOPE_SYS
.LBB0_3394:                             ;   Parent Loop BB0_2003 Depth=1
                                        ; =>  This Inner Loop Header: Depth=2
	global_load_b64 v[2:3], v0, s[4:5] scope:SCOPE_SYS
	s_wait_loadcnt 0x0
	v_cmp_ne_u64_e32 vcc_lo, s[10:11], v[2:3]
	s_cbranch_vccnz .LBB0_3394
; %bb.3395:                             ;   in Loop: Header=BB0_2003 Depth=1
	s_add_co_i32 s10, s8, 0x2b8
	s_mov_b32 s11, s9
	s_delay_alu instid0(SALU_CYCLE_1)
	v_mov_b64_e32 v[2:3], s[10:11]
	s_wait_xcnt 0x0
	global_store_b64 v0, v[2:3], s[6:7] scope:SCOPE_SYS
.LBB0_3396:                             ;   Parent Loop BB0_2003 Depth=1
                                        ; =>  This Inner Loop Header: Depth=2
	global_load_b64 v[2:3], v0, s[4:5] scope:SCOPE_SYS
	s_wait_loadcnt 0x0
	v_cmp_ne_u64_e32 vcc_lo, s[10:11], v[2:3]
	s_cbranch_vccnz .LBB0_3396
; %bb.3397:                             ;   in Loop: Header=BB0_2003 Depth=1
	s_add_co_i32 s10, s8, 0x2b9
	s_mov_b32 s11, s9
	s_delay_alu instid0(SALU_CYCLE_1)
	v_mov_b64_e32 v[2:3], s[10:11]
	s_wait_xcnt 0x0
	global_store_b64 v0, v[2:3], s[6:7] scope:SCOPE_SYS
.LBB0_3398:                             ;   Parent Loop BB0_2003 Depth=1
                                        ; =>  This Inner Loop Header: Depth=2
	global_load_b64 v[2:3], v0, s[4:5] scope:SCOPE_SYS
	s_wait_loadcnt 0x0
	v_cmp_ne_u64_e32 vcc_lo, s[10:11], v[2:3]
	s_cbranch_vccnz .LBB0_3398
; %bb.3399:                             ;   in Loop: Header=BB0_2003 Depth=1
	s_add_co_i32 s10, s8, 0x2ba
	s_mov_b32 s11, s9
	s_delay_alu instid0(SALU_CYCLE_1)
	v_mov_b64_e32 v[2:3], s[10:11]
	s_wait_xcnt 0x0
	global_store_b64 v0, v[2:3], s[6:7] scope:SCOPE_SYS
.LBB0_3400:                             ;   Parent Loop BB0_2003 Depth=1
                                        ; =>  This Inner Loop Header: Depth=2
	global_load_b64 v[2:3], v0, s[4:5] scope:SCOPE_SYS
	s_wait_loadcnt 0x0
	v_cmp_ne_u64_e32 vcc_lo, s[10:11], v[2:3]
	s_cbranch_vccnz .LBB0_3400
; %bb.3401:                             ;   in Loop: Header=BB0_2003 Depth=1
	s_add_co_i32 s10, s8, 0x2bb
	s_mov_b32 s11, s9
	s_delay_alu instid0(SALU_CYCLE_1)
	v_mov_b64_e32 v[2:3], s[10:11]
	s_wait_xcnt 0x0
	global_store_b64 v0, v[2:3], s[6:7] scope:SCOPE_SYS
.LBB0_3402:                             ;   Parent Loop BB0_2003 Depth=1
                                        ; =>  This Inner Loop Header: Depth=2
	global_load_b64 v[2:3], v0, s[4:5] scope:SCOPE_SYS
	s_wait_loadcnt 0x0
	v_cmp_ne_u64_e32 vcc_lo, s[10:11], v[2:3]
	s_cbranch_vccnz .LBB0_3402
; %bb.3403:                             ;   in Loop: Header=BB0_2003 Depth=1
	s_add_co_i32 s10, s8, 0x2bc
	s_mov_b32 s11, s9
	s_delay_alu instid0(SALU_CYCLE_1)
	v_mov_b64_e32 v[2:3], s[10:11]
	s_wait_xcnt 0x0
	global_store_b64 v0, v[2:3], s[6:7] scope:SCOPE_SYS
.LBB0_3404:                             ;   Parent Loop BB0_2003 Depth=1
                                        ; =>  This Inner Loop Header: Depth=2
	global_load_b64 v[2:3], v0, s[4:5] scope:SCOPE_SYS
	s_wait_loadcnt 0x0
	v_cmp_ne_u64_e32 vcc_lo, s[10:11], v[2:3]
	s_cbranch_vccnz .LBB0_3404
; %bb.3405:                             ;   in Loop: Header=BB0_2003 Depth=1
	s_add_co_i32 s10, s8, 0x2bd
	s_mov_b32 s11, s9
	s_delay_alu instid0(SALU_CYCLE_1)
	v_mov_b64_e32 v[2:3], s[10:11]
	s_wait_xcnt 0x0
	global_store_b64 v0, v[2:3], s[6:7] scope:SCOPE_SYS
.LBB0_3406:                             ;   Parent Loop BB0_2003 Depth=1
                                        ; =>  This Inner Loop Header: Depth=2
	global_load_b64 v[2:3], v0, s[4:5] scope:SCOPE_SYS
	s_wait_loadcnt 0x0
	v_cmp_ne_u64_e32 vcc_lo, s[10:11], v[2:3]
	s_cbranch_vccnz .LBB0_3406
; %bb.3407:                             ;   in Loop: Header=BB0_2003 Depth=1
	s_add_co_i32 s10, s8, 0x2be
	s_mov_b32 s11, s9
	s_delay_alu instid0(SALU_CYCLE_1)
	v_mov_b64_e32 v[2:3], s[10:11]
	s_wait_xcnt 0x0
	global_store_b64 v0, v[2:3], s[6:7] scope:SCOPE_SYS
.LBB0_3408:                             ;   Parent Loop BB0_2003 Depth=1
                                        ; =>  This Inner Loop Header: Depth=2
	global_load_b64 v[2:3], v0, s[4:5] scope:SCOPE_SYS
	s_wait_loadcnt 0x0
	v_cmp_ne_u64_e32 vcc_lo, s[10:11], v[2:3]
	s_cbranch_vccnz .LBB0_3408
; %bb.3409:                             ;   in Loop: Header=BB0_2003 Depth=1
	s_add_co_i32 s10, s8, 0x2bf
	s_mov_b32 s11, s9
	s_delay_alu instid0(SALU_CYCLE_1)
	v_mov_b64_e32 v[2:3], s[10:11]
	s_wait_xcnt 0x0
	global_store_b64 v0, v[2:3], s[6:7] scope:SCOPE_SYS
.LBB0_3410:                             ;   Parent Loop BB0_2003 Depth=1
                                        ; =>  This Inner Loop Header: Depth=2
	global_load_b64 v[2:3], v0, s[4:5] scope:SCOPE_SYS
	s_wait_loadcnt 0x0
	v_cmp_ne_u64_e32 vcc_lo, s[10:11], v[2:3]
	s_cbranch_vccnz .LBB0_3410
; %bb.3411:                             ;   in Loop: Header=BB0_2003 Depth=1
	s_add_co_i32 s10, s8, 0x2c0
	s_mov_b32 s11, s9
	s_delay_alu instid0(SALU_CYCLE_1)
	v_mov_b64_e32 v[2:3], s[10:11]
	s_wait_xcnt 0x0
	global_store_b64 v0, v[2:3], s[6:7] scope:SCOPE_SYS
.LBB0_3412:                             ;   Parent Loop BB0_2003 Depth=1
                                        ; =>  This Inner Loop Header: Depth=2
	global_load_b64 v[2:3], v0, s[4:5] scope:SCOPE_SYS
	s_wait_loadcnt 0x0
	v_cmp_ne_u64_e32 vcc_lo, s[10:11], v[2:3]
	s_cbranch_vccnz .LBB0_3412
; %bb.3413:                             ;   in Loop: Header=BB0_2003 Depth=1
	s_add_co_i32 s10, s8, 0x2c1
	s_mov_b32 s11, s9
	s_delay_alu instid0(SALU_CYCLE_1)
	v_mov_b64_e32 v[2:3], s[10:11]
	s_wait_xcnt 0x0
	global_store_b64 v0, v[2:3], s[6:7] scope:SCOPE_SYS
.LBB0_3414:                             ;   Parent Loop BB0_2003 Depth=1
                                        ; =>  This Inner Loop Header: Depth=2
	global_load_b64 v[2:3], v0, s[4:5] scope:SCOPE_SYS
	s_wait_loadcnt 0x0
	v_cmp_ne_u64_e32 vcc_lo, s[10:11], v[2:3]
	s_cbranch_vccnz .LBB0_3414
; %bb.3415:                             ;   in Loop: Header=BB0_2003 Depth=1
	s_add_co_i32 s10, s8, 0x2c2
	s_mov_b32 s11, s9
	s_delay_alu instid0(SALU_CYCLE_1)
	v_mov_b64_e32 v[2:3], s[10:11]
	s_wait_xcnt 0x0
	global_store_b64 v0, v[2:3], s[6:7] scope:SCOPE_SYS
.LBB0_3416:                             ;   Parent Loop BB0_2003 Depth=1
                                        ; =>  This Inner Loop Header: Depth=2
	global_load_b64 v[2:3], v0, s[4:5] scope:SCOPE_SYS
	s_wait_loadcnt 0x0
	v_cmp_ne_u64_e32 vcc_lo, s[10:11], v[2:3]
	s_cbranch_vccnz .LBB0_3416
; %bb.3417:                             ;   in Loop: Header=BB0_2003 Depth=1
	s_add_co_i32 s10, s8, 0x2c3
	s_mov_b32 s11, s9
	s_delay_alu instid0(SALU_CYCLE_1)
	v_mov_b64_e32 v[2:3], s[10:11]
	s_wait_xcnt 0x0
	global_store_b64 v0, v[2:3], s[6:7] scope:SCOPE_SYS
.LBB0_3418:                             ;   Parent Loop BB0_2003 Depth=1
                                        ; =>  This Inner Loop Header: Depth=2
	global_load_b64 v[2:3], v0, s[4:5] scope:SCOPE_SYS
	s_wait_loadcnt 0x0
	v_cmp_ne_u64_e32 vcc_lo, s[10:11], v[2:3]
	s_cbranch_vccnz .LBB0_3418
; %bb.3419:                             ;   in Loop: Header=BB0_2003 Depth=1
	s_add_co_i32 s10, s8, 0x2c4
	s_mov_b32 s11, s9
	s_delay_alu instid0(SALU_CYCLE_1)
	v_mov_b64_e32 v[2:3], s[10:11]
	s_wait_xcnt 0x0
	global_store_b64 v0, v[2:3], s[6:7] scope:SCOPE_SYS
.LBB0_3420:                             ;   Parent Loop BB0_2003 Depth=1
                                        ; =>  This Inner Loop Header: Depth=2
	global_load_b64 v[2:3], v0, s[4:5] scope:SCOPE_SYS
	s_wait_loadcnt 0x0
	v_cmp_ne_u64_e32 vcc_lo, s[10:11], v[2:3]
	s_cbranch_vccnz .LBB0_3420
; %bb.3421:                             ;   in Loop: Header=BB0_2003 Depth=1
	s_add_co_i32 s10, s8, 0x2c5
	s_mov_b32 s11, s9
	s_delay_alu instid0(SALU_CYCLE_1)
	v_mov_b64_e32 v[2:3], s[10:11]
	s_wait_xcnt 0x0
	global_store_b64 v0, v[2:3], s[6:7] scope:SCOPE_SYS
.LBB0_3422:                             ;   Parent Loop BB0_2003 Depth=1
                                        ; =>  This Inner Loop Header: Depth=2
	global_load_b64 v[2:3], v0, s[4:5] scope:SCOPE_SYS
	s_wait_loadcnt 0x0
	v_cmp_ne_u64_e32 vcc_lo, s[10:11], v[2:3]
	s_cbranch_vccnz .LBB0_3422
; %bb.3423:                             ;   in Loop: Header=BB0_2003 Depth=1
	s_add_co_i32 s10, s8, 0x2c6
	s_mov_b32 s11, s9
	s_delay_alu instid0(SALU_CYCLE_1)
	v_mov_b64_e32 v[2:3], s[10:11]
	s_wait_xcnt 0x0
	global_store_b64 v0, v[2:3], s[6:7] scope:SCOPE_SYS
.LBB0_3424:                             ;   Parent Loop BB0_2003 Depth=1
                                        ; =>  This Inner Loop Header: Depth=2
	global_load_b64 v[2:3], v0, s[4:5] scope:SCOPE_SYS
	s_wait_loadcnt 0x0
	v_cmp_ne_u64_e32 vcc_lo, s[10:11], v[2:3]
	s_cbranch_vccnz .LBB0_3424
; %bb.3425:                             ;   in Loop: Header=BB0_2003 Depth=1
	s_add_co_i32 s10, s8, 0x2c7
	s_mov_b32 s11, s9
	s_delay_alu instid0(SALU_CYCLE_1)
	v_mov_b64_e32 v[2:3], s[10:11]
	s_wait_xcnt 0x0
	global_store_b64 v0, v[2:3], s[6:7] scope:SCOPE_SYS
.LBB0_3426:                             ;   Parent Loop BB0_2003 Depth=1
                                        ; =>  This Inner Loop Header: Depth=2
	global_load_b64 v[2:3], v0, s[4:5] scope:SCOPE_SYS
	s_wait_loadcnt 0x0
	v_cmp_ne_u64_e32 vcc_lo, s[10:11], v[2:3]
	s_cbranch_vccnz .LBB0_3426
; %bb.3427:                             ;   in Loop: Header=BB0_2003 Depth=1
	s_add_co_i32 s10, s8, 0x2c8
	s_mov_b32 s11, s9
	s_delay_alu instid0(SALU_CYCLE_1)
	v_mov_b64_e32 v[2:3], s[10:11]
	s_wait_xcnt 0x0
	global_store_b64 v0, v[2:3], s[6:7] scope:SCOPE_SYS
.LBB0_3428:                             ;   Parent Loop BB0_2003 Depth=1
                                        ; =>  This Inner Loop Header: Depth=2
	global_load_b64 v[2:3], v0, s[4:5] scope:SCOPE_SYS
	s_wait_loadcnt 0x0
	v_cmp_ne_u64_e32 vcc_lo, s[10:11], v[2:3]
	s_cbranch_vccnz .LBB0_3428
; %bb.3429:                             ;   in Loop: Header=BB0_2003 Depth=1
	s_add_co_i32 s10, s8, 0x2c9
	s_mov_b32 s11, s9
	s_delay_alu instid0(SALU_CYCLE_1)
	v_mov_b64_e32 v[2:3], s[10:11]
	s_wait_xcnt 0x0
	global_store_b64 v0, v[2:3], s[6:7] scope:SCOPE_SYS
.LBB0_3430:                             ;   Parent Loop BB0_2003 Depth=1
                                        ; =>  This Inner Loop Header: Depth=2
	global_load_b64 v[2:3], v0, s[4:5] scope:SCOPE_SYS
	s_wait_loadcnt 0x0
	v_cmp_ne_u64_e32 vcc_lo, s[10:11], v[2:3]
	s_cbranch_vccnz .LBB0_3430
; %bb.3431:                             ;   in Loop: Header=BB0_2003 Depth=1
	s_add_co_i32 s10, s8, 0x2ca
	s_mov_b32 s11, s9
	s_delay_alu instid0(SALU_CYCLE_1)
	v_mov_b64_e32 v[2:3], s[10:11]
	s_wait_xcnt 0x0
	global_store_b64 v0, v[2:3], s[6:7] scope:SCOPE_SYS
.LBB0_3432:                             ;   Parent Loop BB0_2003 Depth=1
                                        ; =>  This Inner Loop Header: Depth=2
	global_load_b64 v[2:3], v0, s[4:5] scope:SCOPE_SYS
	s_wait_loadcnt 0x0
	v_cmp_ne_u64_e32 vcc_lo, s[10:11], v[2:3]
	s_cbranch_vccnz .LBB0_3432
; %bb.3433:                             ;   in Loop: Header=BB0_2003 Depth=1
	s_add_co_i32 s10, s8, 0x2cb
	s_mov_b32 s11, s9
	s_delay_alu instid0(SALU_CYCLE_1)
	v_mov_b64_e32 v[2:3], s[10:11]
	s_wait_xcnt 0x0
	global_store_b64 v0, v[2:3], s[6:7] scope:SCOPE_SYS
.LBB0_3434:                             ;   Parent Loop BB0_2003 Depth=1
                                        ; =>  This Inner Loop Header: Depth=2
	global_load_b64 v[2:3], v0, s[4:5] scope:SCOPE_SYS
	s_wait_loadcnt 0x0
	v_cmp_ne_u64_e32 vcc_lo, s[10:11], v[2:3]
	s_cbranch_vccnz .LBB0_3434
; %bb.3435:                             ;   in Loop: Header=BB0_2003 Depth=1
	s_add_co_i32 s10, s8, 0x2cc
	s_mov_b32 s11, s9
	s_delay_alu instid0(SALU_CYCLE_1)
	v_mov_b64_e32 v[2:3], s[10:11]
	s_wait_xcnt 0x0
	global_store_b64 v0, v[2:3], s[6:7] scope:SCOPE_SYS
.LBB0_3436:                             ;   Parent Loop BB0_2003 Depth=1
                                        ; =>  This Inner Loop Header: Depth=2
	global_load_b64 v[2:3], v0, s[4:5] scope:SCOPE_SYS
	s_wait_loadcnt 0x0
	v_cmp_ne_u64_e32 vcc_lo, s[10:11], v[2:3]
	s_cbranch_vccnz .LBB0_3436
; %bb.3437:                             ;   in Loop: Header=BB0_2003 Depth=1
	s_add_co_i32 s10, s8, 0x2cd
	s_mov_b32 s11, s9
	s_delay_alu instid0(SALU_CYCLE_1)
	v_mov_b64_e32 v[2:3], s[10:11]
	s_wait_xcnt 0x0
	global_store_b64 v0, v[2:3], s[6:7] scope:SCOPE_SYS
.LBB0_3438:                             ;   Parent Loop BB0_2003 Depth=1
                                        ; =>  This Inner Loop Header: Depth=2
	global_load_b64 v[2:3], v0, s[4:5] scope:SCOPE_SYS
	s_wait_loadcnt 0x0
	v_cmp_ne_u64_e32 vcc_lo, s[10:11], v[2:3]
	s_cbranch_vccnz .LBB0_3438
; %bb.3439:                             ;   in Loop: Header=BB0_2003 Depth=1
	s_add_co_i32 s10, s8, 0x2ce
	s_mov_b32 s11, s9
	s_delay_alu instid0(SALU_CYCLE_1)
	v_mov_b64_e32 v[2:3], s[10:11]
	s_wait_xcnt 0x0
	global_store_b64 v0, v[2:3], s[6:7] scope:SCOPE_SYS
.LBB0_3440:                             ;   Parent Loop BB0_2003 Depth=1
                                        ; =>  This Inner Loop Header: Depth=2
	global_load_b64 v[2:3], v0, s[4:5] scope:SCOPE_SYS
	s_wait_loadcnt 0x0
	v_cmp_ne_u64_e32 vcc_lo, s[10:11], v[2:3]
	s_cbranch_vccnz .LBB0_3440
; %bb.3441:                             ;   in Loop: Header=BB0_2003 Depth=1
	s_add_co_i32 s10, s8, 0x2cf
	s_mov_b32 s11, s9
	s_delay_alu instid0(SALU_CYCLE_1)
	v_mov_b64_e32 v[2:3], s[10:11]
	s_wait_xcnt 0x0
	global_store_b64 v0, v[2:3], s[6:7] scope:SCOPE_SYS
.LBB0_3442:                             ;   Parent Loop BB0_2003 Depth=1
                                        ; =>  This Inner Loop Header: Depth=2
	global_load_b64 v[2:3], v0, s[4:5] scope:SCOPE_SYS
	s_wait_loadcnt 0x0
	v_cmp_ne_u64_e32 vcc_lo, s[10:11], v[2:3]
	s_cbranch_vccnz .LBB0_3442
; %bb.3443:                             ;   in Loop: Header=BB0_2003 Depth=1
	s_add_co_i32 s10, s8, 0x2d0
	s_mov_b32 s11, s9
	s_delay_alu instid0(SALU_CYCLE_1)
	v_mov_b64_e32 v[2:3], s[10:11]
	s_wait_xcnt 0x0
	global_store_b64 v0, v[2:3], s[6:7] scope:SCOPE_SYS
.LBB0_3444:                             ;   Parent Loop BB0_2003 Depth=1
                                        ; =>  This Inner Loop Header: Depth=2
	global_load_b64 v[2:3], v0, s[4:5] scope:SCOPE_SYS
	s_wait_loadcnt 0x0
	v_cmp_ne_u64_e32 vcc_lo, s[10:11], v[2:3]
	s_cbranch_vccnz .LBB0_3444
; %bb.3445:                             ;   in Loop: Header=BB0_2003 Depth=1
	s_add_co_i32 s10, s8, 0x2d1
	s_mov_b32 s11, s9
	s_delay_alu instid0(SALU_CYCLE_1)
	v_mov_b64_e32 v[2:3], s[10:11]
	s_wait_xcnt 0x0
	global_store_b64 v0, v[2:3], s[6:7] scope:SCOPE_SYS
.LBB0_3446:                             ;   Parent Loop BB0_2003 Depth=1
                                        ; =>  This Inner Loop Header: Depth=2
	global_load_b64 v[2:3], v0, s[4:5] scope:SCOPE_SYS
	s_wait_loadcnt 0x0
	v_cmp_ne_u64_e32 vcc_lo, s[10:11], v[2:3]
	s_cbranch_vccnz .LBB0_3446
; %bb.3447:                             ;   in Loop: Header=BB0_2003 Depth=1
	s_add_co_i32 s10, s8, 0x2d2
	s_mov_b32 s11, s9
	s_delay_alu instid0(SALU_CYCLE_1)
	v_mov_b64_e32 v[2:3], s[10:11]
	s_wait_xcnt 0x0
	global_store_b64 v0, v[2:3], s[6:7] scope:SCOPE_SYS
.LBB0_3448:                             ;   Parent Loop BB0_2003 Depth=1
                                        ; =>  This Inner Loop Header: Depth=2
	global_load_b64 v[2:3], v0, s[4:5] scope:SCOPE_SYS
	s_wait_loadcnt 0x0
	v_cmp_ne_u64_e32 vcc_lo, s[10:11], v[2:3]
	s_cbranch_vccnz .LBB0_3448
; %bb.3449:                             ;   in Loop: Header=BB0_2003 Depth=1
	s_add_co_i32 s10, s8, 0x2d3
	s_mov_b32 s11, s9
	s_delay_alu instid0(SALU_CYCLE_1)
	v_mov_b64_e32 v[2:3], s[10:11]
	s_wait_xcnt 0x0
	global_store_b64 v0, v[2:3], s[6:7] scope:SCOPE_SYS
.LBB0_3450:                             ;   Parent Loop BB0_2003 Depth=1
                                        ; =>  This Inner Loop Header: Depth=2
	global_load_b64 v[2:3], v0, s[4:5] scope:SCOPE_SYS
	s_wait_loadcnt 0x0
	v_cmp_ne_u64_e32 vcc_lo, s[10:11], v[2:3]
	s_cbranch_vccnz .LBB0_3450
; %bb.3451:                             ;   in Loop: Header=BB0_2003 Depth=1
	s_add_co_i32 s10, s8, 0x2d4
	s_mov_b32 s11, s9
	s_delay_alu instid0(SALU_CYCLE_1)
	v_mov_b64_e32 v[2:3], s[10:11]
	s_wait_xcnt 0x0
	global_store_b64 v0, v[2:3], s[6:7] scope:SCOPE_SYS
.LBB0_3452:                             ;   Parent Loop BB0_2003 Depth=1
                                        ; =>  This Inner Loop Header: Depth=2
	global_load_b64 v[2:3], v0, s[4:5] scope:SCOPE_SYS
	s_wait_loadcnt 0x0
	v_cmp_ne_u64_e32 vcc_lo, s[10:11], v[2:3]
	s_cbranch_vccnz .LBB0_3452
; %bb.3453:                             ;   in Loop: Header=BB0_2003 Depth=1
	s_add_co_i32 s10, s8, 0x2d5
	s_mov_b32 s11, s9
	s_delay_alu instid0(SALU_CYCLE_1)
	v_mov_b64_e32 v[2:3], s[10:11]
	s_wait_xcnt 0x0
	global_store_b64 v0, v[2:3], s[6:7] scope:SCOPE_SYS
.LBB0_3454:                             ;   Parent Loop BB0_2003 Depth=1
                                        ; =>  This Inner Loop Header: Depth=2
	global_load_b64 v[2:3], v0, s[4:5] scope:SCOPE_SYS
	s_wait_loadcnt 0x0
	v_cmp_ne_u64_e32 vcc_lo, s[10:11], v[2:3]
	s_cbranch_vccnz .LBB0_3454
; %bb.3455:                             ;   in Loop: Header=BB0_2003 Depth=1
	s_add_co_i32 s10, s8, 0x2d6
	s_mov_b32 s11, s9
	s_delay_alu instid0(SALU_CYCLE_1)
	v_mov_b64_e32 v[2:3], s[10:11]
	s_wait_xcnt 0x0
	global_store_b64 v0, v[2:3], s[6:7] scope:SCOPE_SYS
.LBB0_3456:                             ;   Parent Loop BB0_2003 Depth=1
                                        ; =>  This Inner Loop Header: Depth=2
	global_load_b64 v[2:3], v0, s[4:5] scope:SCOPE_SYS
	s_wait_loadcnt 0x0
	v_cmp_ne_u64_e32 vcc_lo, s[10:11], v[2:3]
	s_cbranch_vccnz .LBB0_3456
; %bb.3457:                             ;   in Loop: Header=BB0_2003 Depth=1
	s_add_co_i32 s10, s8, 0x2d7
	s_mov_b32 s11, s9
	s_delay_alu instid0(SALU_CYCLE_1)
	v_mov_b64_e32 v[2:3], s[10:11]
	s_wait_xcnt 0x0
	global_store_b64 v0, v[2:3], s[6:7] scope:SCOPE_SYS
.LBB0_3458:                             ;   Parent Loop BB0_2003 Depth=1
                                        ; =>  This Inner Loop Header: Depth=2
	global_load_b64 v[2:3], v0, s[4:5] scope:SCOPE_SYS
	s_wait_loadcnt 0x0
	v_cmp_ne_u64_e32 vcc_lo, s[10:11], v[2:3]
	s_cbranch_vccnz .LBB0_3458
; %bb.3459:                             ;   in Loop: Header=BB0_2003 Depth=1
	s_add_co_i32 s10, s8, 0x2d8
	s_mov_b32 s11, s9
	s_delay_alu instid0(SALU_CYCLE_1)
	v_mov_b64_e32 v[2:3], s[10:11]
	s_wait_xcnt 0x0
	global_store_b64 v0, v[2:3], s[6:7] scope:SCOPE_SYS
.LBB0_3460:                             ;   Parent Loop BB0_2003 Depth=1
                                        ; =>  This Inner Loop Header: Depth=2
	global_load_b64 v[2:3], v0, s[4:5] scope:SCOPE_SYS
	s_wait_loadcnt 0x0
	v_cmp_ne_u64_e32 vcc_lo, s[10:11], v[2:3]
	s_cbranch_vccnz .LBB0_3460
; %bb.3461:                             ;   in Loop: Header=BB0_2003 Depth=1
	s_add_co_i32 s10, s8, 0x2d9
	s_mov_b32 s11, s9
	s_delay_alu instid0(SALU_CYCLE_1)
	v_mov_b64_e32 v[2:3], s[10:11]
	s_wait_xcnt 0x0
	global_store_b64 v0, v[2:3], s[6:7] scope:SCOPE_SYS
.LBB0_3462:                             ;   Parent Loop BB0_2003 Depth=1
                                        ; =>  This Inner Loop Header: Depth=2
	global_load_b64 v[2:3], v0, s[4:5] scope:SCOPE_SYS
	s_wait_loadcnt 0x0
	v_cmp_ne_u64_e32 vcc_lo, s[10:11], v[2:3]
	s_cbranch_vccnz .LBB0_3462
; %bb.3463:                             ;   in Loop: Header=BB0_2003 Depth=1
	s_add_co_i32 s10, s8, 0x2da
	s_mov_b32 s11, s9
	s_delay_alu instid0(SALU_CYCLE_1)
	v_mov_b64_e32 v[2:3], s[10:11]
	s_wait_xcnt 0x0
	global_store_b64 v0, v[2:3], s[6:7] scope:SCOPE_SYS
.LBB0_3464:                             ;   Parent Loop BB0_2003 Depth=1
                                        ; =>  This Inner Loop Header: Depth=2
	global_load_b64 v[2:3], v0, s[4:5] scope:SCOPE_SYS
	s_wait_loadcnt 0x0
	v_cmp_ne_u64_e32 vcc_lo, s[10:11], v[2:3]
	s_cbranch_vccnz .LBB0_3464
; %bb.3465:                             ;   in Loop: Header=BB0_2003 Depth=1
	s_add_co_i32 s10, s8, 0x2db
	s_mov_b32 s11, s9
	s_delay_alu instid0(SALU_CYCLE_1)
	v_mov_b64_e32 v[2:3], s[10:11]
	s_wait_xcnt 0x0
	global_store_b64 v0, v[2:3], s[6:7] scope:SCOPE_SYS
.LBB0_3466:                             ;   Parent Loop BB0_2003 Depth=1
                                        ; =>  This Inner Loop Header: Depth=2
	global_load_b64 v[2:3], v0, s[4:5] scope:SCOPE_SYS
	s_wait_loadcnt 0x0
	v_cmp_ne_u64_e32 vcc_lo, s[10:11], v[2:3]
	s_cbranch_vccnz .LBB0_3466
; %bb.3467:                             ;   in Loop: Header=BB0_2003 Depth=1
	s_add_co_i32 s10, s8, 0x2dc
	s_mov_b32 s11, s9
	s_delay_alu instid0(SALU_CYCLE_1)
	v_mov_b64_e32 v[2:3], s[10:11]
	s_wait_xcnt 0x0
	global_store_b64 v0, v[2:3], s[6:7] scope:SCOPE_SYS
.LBB0_3468:                             ;   Parent Loop BB0_2003 Depth=1
                                        ; =>  This Inner Loop Header: Depth=2
	global_load_b64 v[2:3], v0, s[4:5] scope:SCOPE_SYS
	s_wait_loadcnt 0x0
	v_cmp_ne_u64_e32 vcc_lo, s[10:11], v[2:3]
	s_cbranch_vccnz .LBB0_3468
; %bb.3469:                             ;   in Loop: Header=BB0_2003 Depth=1
	s_add_co_i32 s10, s8, 0x2dd
	s_mov_b32 s11, s9
	s_delay_alu instid0(SALU_CYCLE_1)
	v_mov_b64_e32 v[2:3], s[10:11]
	s_wait_xcnt 0x0
	global_store_b64 v0, v[2:3], s[6:7] scope:SCOPE_SYS
.LBB0_3470:                             ;   Parent Loop BB0_2003 Depth=1
                                        ; =>  This Inner Loop Header: Depth=2
	global_load_b64 v[2:3], v0, s[4:5] scope:SCOPE_SYS
	s_wait_loadcnt 0x0
	v_cmp_ne_u64_e32 vcc_lo, s[10:11], v[2:3]
	s_cbranch_vccnz .LBB0_3470
; %bb.3471:                             ;   in Loop: Header=BB0_2003 Depth=1
	s_add_co_i32 s10, s8, 0x2de
	s_mov_b32 s11, s9
	s_delay_alu instid0(SALU_CYCLE_1)
	v_mov_b64_e32 v[2:3], s[10:11]
	s_wait_xcnt 0x0
	global_store_b64 v0, v[2:3], s[6:7] scope:SCOPE_SYS
.LBB0_3472:                             ;   Parent Loop BB0_2003 Depth=1
                                        ; =>  This Inner Loop Header: Depth=2
	global_load_b64 v[2:3], v0, s[4:5] scope:SCOPE_SYS
	s_wait_loadcnt 0x0
	v_cmp_ne_u64_e32 vcc_lo, s[10:11], v[2:3]
	s_cbranch_vccnz .LBB0_3472
; %bb.3473:                             ;   in Loop: Header=BB0_2003 Depth=1
	s_add_co_i32 s10, s8, 0x2df
	s_mov_b32 s11, s9
	s_delay_alu instid0(SALU_CYCLE_1)
	v_mov_b64_e32 v[2:3], s[10:11]
	s_wait_xcnt 0x0
	global_store_b64 v0, v[2:3], s[6:7] scope:SCOPE_SYS
.LBB0_3474:                             ;   Parent Loop BB0_2003 Depth=1
                                        ; =>  This Inner Loop Header: Depth=2
	global_load_b64 v[2:3], v0, s[4:5] scope:SCOPE_SYS
	s_wait_loadcnt 0x0
	v_cmp_ne_u64_e32 vcc_lo, s[10:11], v[2:3]
	s_cbranch_vccnz .LBB0_3474
; %bb.3475:                             ;   in Loop: Header=BB0_2003 Depth=1
	s_add_co_i32 s10, s8, 0x2e0
	s_mov_b32 s11, s9
	s_delay_alu instid0(SALU_CYCLE_1)
	v_mov_b64_e32 v[2:3], s[10:11]
	s_wait_xcnt 0x0
	global_store_b64 v0, v[2:3], s[6:7] scope:SCOPE_SYS
.LBB0_3476:                             ;   Parent Loop BB0_2003 Depth=1
                                        ; =>  This Inner Loop Header: Depth=2
	global_load_b64 v[2:3], v0, s[4:5] scope:SCOPE_SYS
	s_wait_loadcnt 0x0
	v_cmp_ne_u64_e32 vcc_lo, s[10:11], v[2:3]
	s_cbranch_vccnz .LBB0_3476
; %bb.3477:                             ;   in Loop: Header=BB0_2003 Depth=1
	s_add_co_i32 s10, s8, 0x2e1
	s_mov_b32 s11, s9
	s_delay_alu instid0(SALU_CYCLE_1)
	v_mov_b64_e32 v[2:3], s[10:11]
	s_wait_xcnt 0x0
	global_store_b64 v0, v[2:3], s[6:7] scope:SCOPE_SYS
.LBB0_3478:                             ;   Parent Loop BB0_2003 Depth=1
                                        ; =>  This Inner Loop Header: Depth=2
	global_load_b64 v[2:3], v0, s[4:5] scope:SCOPE_SYS
	s_wait_loadcnt 0x0
	v_cmp_ne_u64_e32 vcc_lo, s[10:11], v[2:3]
	s_cbranch_vccnz .LBB0_3478
; %bb.3479:                             ;   in Loop: Header=BB0_2003 Depth=1
	s_add_co_i32 s10, s8, 0x2e2
	s_mov_b32 s11, s9
	s_delay_alu instid0(SALU_CYCLE_1)
	v_mov_b64_e32 v[2:3], s[10:11]
	s_wait_xcnt 0x0
	global_store_b64 v0, v[2:3], s[6:7] scope:SCOPE_SYS
.LBB0_3480:                             ;   Parent Loop BB0_2003 Depth=1
                                        ; =>  This Inner Loop Header: Depth=2
	global_load_b64 v[2:3], v0, s[4:5] scope:SCOPE_SYS
	s_wait_loadcnt 0x0
	v_cmp_ne_u64_e32 vcc_lo, s[10:11], v[2:3]
	s_cbranch_vccnz .LBB0_3480
; %bb.3481:                             ;   in Loop: Header=BB0_2003 Depth=1
	s_add_co_i32 s10, s8, 0x2e3
	s_mov_b32 s11, s9
	s_delay_alu instid0(SALU_CYCLE_1)
	v_mov_b64_e32 v[2:3], s[10:11]
	s_wait_xcnt 0x0
	global_store_b64 v0, v[2:3], s[6:7] scope:SCOPE_SYS
.LBB0_3482:                             ;   Parent Loop BB0_2003 Depth=1
                                        ; =>  This Inner Loop Header: Depth=2
	global_load_b64 v[2:3], v0, s[4:5] scope:SCOPE_SYS
	s_wait_loadcnt 0x0
	v_cmp_ne_u64_e32 vcc_lo, s[10:11], v[2:3]
	s_cbranch_vccnz .LBB0_3482
; %bb.3483:                             ;   in Loop: Header=BB0_2003 Depth=1
	s_add_co_i32 s10, s8, 0x2e4
	s_mov_b32 s11, s9
	s_delay_alu instid0(SALU_CYCLE_1)
	v_mov_b64_e32 v[2:3], s[10:11]
	s_wait_xcnt 0x0
	global_store_b64 v0, v[2:3], s[6:7] scope:SCOPE_SYS
.LBB0_3484:                             ;   Parent Loop BB0_2003 Depth=1
                                        ; =>  This Inner Loop Header: Depth=2
	global_load_b64 v[2:3], v0, s[4:5] scope:SCOPE_SYS
	s_wait_loadcnt 0x0
	v_cmp_ne_u64_e32 vcc_lo, s[10:11], v[2:3]
	s_cbranch_vccnz .LBB0_3484
; %bb.3485:                             ;   in Loop: Header=BB0_2003 Depth=1
	s_add_co_i32 s10, s8, 0x2e5
	s_mov_b32 s11, s9
	s_delay_alu instid0(SALU_CYCLE_1)
	v_mov_b64_e32 v[2:3], s[10:11]
	s_wait_xcnt 0x0
	global_store_b64 v0, v[2:3], s[6:7] scope:SCOPE_SYS
.LBB0_3486:                             ;   Parent Loop BB0_2003 Depth=1
                                        ; =>  This Inner Loop Header: Depth=2
	global_load_b64 v[2:3], v0, s[4:5] scope:SCOPE_SYS
	s_wait_loadcnt 0x0
	v_cmp_ne_u64_e32 vcc_lo, s[10:11], v[2:3]
	s_cbranch_vccnz .LBB0_3486
; %bb.3487:                             ;   in Loop: Header=BB0_2003 Depth=1
	s_add_co_i32 s10, s8, 0x2e6
	s_mov_b32 s11, s9
	s_delay_alu instid0(SALU_CYCLE_1)
	v_mov_b64_e32 v[2:3], s[10:11]
	s_wait_xcnt 0x0
	global_store_b64 v0, v[2:3], s[6:7] scope:SCOPE_SYS
.LBB0_3488:                             ;   Parent Loop BB0_2003 Depth=1
                                        ; =>  This Inner Loop Header: Depth=2
	global_load_b64 v[2:3], v0, s[4:5] scope:SCOPE_SYS
	s_wait_loadcnt 0x0
	v_cmp_ne_u64_e32 vcc_lo, s[10:11], v[2:3]
	s_cbranch_vccnz .LBB0_3488
; %bb.3489:                             ;   in Loop: Header=BB0_2003 Depth=1
	s_add_co_i32 s10, s8, 0x2e7
	s_mov_b32 s11, s9
	s_delay_alu instid0(SALU_CYCLE_1)
	v_mov_b64_e32 v[2:3], s[10:11]
	s_wait_xcnt 0x0
	global_store_b64 v0, v[2:3], s[6:7] scope:SCOPE_SYS
.LBB0_3490:                             ;   Parent Loop BB0_2003 Depth=1
                                        ; =>  This Inner Loop Header: Depth=2
	global_load_b64 v[2:3], v0, s[4:5] scope:SCOPE_SYS
	s_wait_loadcnt 0x0
	v_cmp_ne_u64_e32 vcc_lo, s[10:11], v[2:3]
	s_cbranch_vccnz .LBB0_3490
; %bb.3491:                             ;   in Loop: Header=BB0_2003 Depth=1
	s_add_co_i32 s10, s8, 0x2e8
	s_mov_b32 s11, s9
	s_delay_alu instid0(SALU_CYCLE_1)
	v_mov_b64_e32 v[2:3], s[10:11]
	s_wait_xcnt 0x0
	global_store_b64 v0, v[2:3], s[6:7] scope:SCOPE_SYS
.LBB0_3492:                             ;   Parent Loop BB0_2003 Depth=1
                                        ; =>  This Inner Loop Header: Depth=2
	global_load_b64 v[2:3], v0, s[4:5] scope:SCOPE_SYS
	s_wait_loadcnt 0x0
	v_cmp_ne_u64_e32 vcc_lo, s[10:11], v[2:3]
	s_cbranch_vccnz .LBB0_3492
; %bb.3493:                             ;   in Loop: Header=BB0_2003 Depth=1
	s_add_co_i32 s10, s8, 0x2e9
	s_mov_b32 s11, s9
	s_delay_alu instid0(SALU_CYCLE_1)
	v_mov_b64_e32 v[2:3], s[10:11]
	s_wait_xcnt 0x0
	global_store_b64 v0, v[2:3], s[6:7] scope:SCOPE_SYS
.LBB0_3494:                             ;   Parent Loop BB0_2003 Depth=1
                                        ; =>  This Inner Loop Header: Depth=2
	global_load_b64 v[2:3], v0, s[4:5] scope:SCOPE_SYS
	s_wait_loadcnt 0x0
	v_cmp_ne_u64_e32 vcc_lo, s[10:11], v[2:3]
	s_cbranch_vccnz .LBB0_3494
; %bb.3495:                             ;   in Loop: Header=BB0_2003 Depth=1
	s_add_co_i32 s10, s8, 0x2ea
	s_mov_b32 s11, s9
	s_delay_alu instid0(SALU_CYCLE_1)
	v_mov_b64_e32 v[2:3], s[10:11]
	s_wait_xcnt 0x0
	global_store_b64 v0, v[2:3], s[6:7] scope:SCOPE_SYS
.LBB0_3496:                             ;   Parent Loop BB0_2003 Depth=1
                                        ; =>  This Inner Loop Header: Depth=2
	global_load_b64 v[2:3], v0, s[4:5] scope:SCOPE_SYS
	s_wait_loadcnt 0x0
	v_cmp_ne_u64_e32 vcc_lo, s[10:11], v[2:3]
	s_cbranch_vccnz .LBB0_3496
; %bb.3497:                             ;   in Loop: Header=BB0_2003 Depth=1
	s_add_co_i32 s10, s8, 0x2eb
	s_mov_b32 s11, s9
	s_delay_alu instid0(SALU_CYCLE_1)
	v_mov_b64_e32 v[2:3], s[10:11]
	s_wait_xcnt 0x0
	global_store_b64 v0, v[2:3], s[6:7] scope:SCOPE_SYS
.LBB0_3498:                             ;   Parent Loop BB0_2003 Depth=1
                                        ; =>  This Inner Loop Header: Depth=2
	global_load_b64 v[2:3], v0, s[4:5] scope:SCOPE_SYS
	s_wait_loadcnt 0x0
	v_cmp_ne_u64_e32 vcc_lo, s[10:11], v[2:3]
	s_cbranch_vccnz .LBB0_3498
; %bb.3499:                             ;   in Loop: Header=BB0_2003 Depth=1
	s_add_co_i32 s10, s8, 0x2ec
	s_mov_b32 s11, s9
	s_delay_alu instid0(SALU_CYCLE_1)
	v_mov_b64_e32 v[2:3], s[10:11]
	s_wait_xcnt 0x0
	global_store_b64 v0, v[2:3], s[6:7] scope:SCOPE_SYS
.LBB0_3500:                             ;   Parent Loop BB0_2003 Depth=1
                                        ; =>  This Inner Loop Header: Depth=2
	global_load_b64 v[2:3], v0, s[4:5] scope:SCOPE_SYS
	s_wait_loadcnt 0x0
	v_cmp_ne_u64_e32 vcc_lo, s[10:11], v[2:3]
	s_cbranch_vccnz .LBB0_3500
; %bb.3501:                             ;   in Loop: Header=BB0_2003 Depth=1
	s_add_co_i32 s10, s8, 0x2ed
	s_mov_b32 s11, s9
	s_delay_alu instid0(SALU_CYCLE_1)
	v_mov_b64_e32 v[2:3], s[10:11]
	s_wait_xcnt 0x0
	global_store_b64 v0, v[2:3], s[6:7] scope:SCOPE_SYS
.LBB0_3502:                             ;   Parent Loop BB0_2003 Depth=1
                                        ; =>  This Inner Loop Header: Depth=2
	global_load_b64 v[2:3], v0, s[4:5] scope:SCOPE_SYS
	s_wait_loadcnt 0x0
	v_cmp_ne_u64_e32 vcc_lo, s[10:11], v[2:3]
	s_cbranch_vccnz .LBB0_3502
; %bb.3503:                             ;   in Loop: Header=BB0_2003 Depth=1
	s_add_co_i32 s10, s8, 0x2ee
	s_mov_b32 s11, s9
	s_delay_alu instid0(SALU_CYCLE_1)
	v_mov_b64_e32 v[2:3], s[10:11]
	s_wait_xcnt 0x0
	global_store_b64 v0, v[2:3], s[6:7] scope:SCOPE_SYS
.LBB0_3504:                             ;   Parent Loop BB0_2003 Depth=1
                                        ; =>  This Inner Loop Header: Depth=2
	global_load_b64 v[2:3], v0, s[4:5] scope:SCOPE_SYS
	s_wait_loadcnt 0x0
	v_cmp_ne_u64_e32 vcc_lo, s[10:11], v[2:3]
	s_cbranch_vccnz .LBB0_3504
; %bb.3505:                             ;   in Loop: Header=BB0_2003 Depth=1
	s_add_co_i32 s10, s8, 0x2ef
	s_mov_b32 s11, s9
	s_delay_alu instid0(SALU_CYCLE_1)
	v_mov_b64_e32 v[2:3], s[10:11]
	s_wait_xcnt 0x0
	global_store_b64 v0, v[2:3], s[6:7] scope:SCOPE_SYS
.LBB0_3506:                             ;   Parent Loop BB0_2003 Depth=1
                                        ; =>  This Inner Loop Header: Depth=2
	global_load_b64 v[2:3], v0, s[4:5] scope:SCOPE_SYS
	s_wait_loadcnt 0x0
	v_cmp_ne_u64_e32 vcc_lo, s[10:11], v[2:3]
	s_cbranch_vccnz .LBB0_3506
; %bb.3507:                             ;   in Loop: Header=BB0_2003 Depth=1
	s_add_co_i32 s10, s8, 0x2f0
	s_mov_b32 s11, s9
	s_delay_alu instid0(SALU_CYCLE_1)
	v_mov_b64_e32 v[2:3], s[10:11]
	s_wait_xcnt 0x0
	global_store_b64 v0, v[2:3], s[6:7] scope:SCOPE_SYS
.LBB0_3508:                             ;   Parent Loop BB0_2003 Depth=1
                                        ; =>  This Inner Loop Header: Depth=2
	global_load_b64 v[2:3], v0, s[4:5] scope:SCOPE_SYS
	s_wait_loadcnt 0x0
	v_cmp_ne_u64_e32 vcc_lo, s[10:11], v[2:3]
	s_cbranch_vccnz .LBB0_3508
; %bb.3509:                             ;   in Loop: Header=BB0_2003 Depth=1
	s_add_co_i32 s10, s8, 0x2f1
	s_mov_b32 s11, s9
	s_delay_alu instid0(SALU_CYCLE_1)
	v_mov_b64_e32 v[2:3], s[10:11]
	s_wait_xcnt 0x0
	global_store_b64 v0, v[2:3], s[6:7] scope:SCOPE_SYS
.LBB0_3510:                             ;   Parent Loop BB0_2003 Depth=1
                                        ; =>  This Inner Loop Header: Depth=2
	global_load_b64 v[2:3], v0, s[4:5] scope:SCOPE_SYS
	s_wait_loadcnt 0x0
	v_cmp_ne_u64_e32 vcc_lo, s[10:11], v[2:3]
	s_cbranch_vccnz .LBB0_3510
; %bb.3511:                             ;   in Loop: Header=BB0_2003 Depth=1
	s_add_co_i32 s10, s8, 0x2f2
	s_mov_b32 s11, s9
	s_delay_alu instid0(SALU_CYCLE_1)
	v_mov_b64_e32 v[2:3], s[10:11]
	s_wait_xcnt 0x0
	global_store_b64 v0, v[2:3], s[6:7] scope:SCOPE_SYS
.LBB0_3512:                             ;   Parent Loop BB0_2003 Depth=1
                                        ; =>  This Inner Loop Header: Depth=2
	global_load_b64 v[2:3], v0, s[4:5] scope:SCOPE_SYS
	s_wait_loadcnt 0x0
	v_cmp_ne_u64_e32 vcc_lo, s[10:11], v[2:3]
	s_cbranch_vccnz .LBB0_3512
; %bb.3513:                             ;   in Loop: Header=BB0_2003 Depth=1
	s_add_co_i32 s10, s8, 0x2f3
	s_mov_b32 s11, s9
	s_delay_alu instid0(SALU_CYCLE_1)
	v_mov_b64_e32 v[2:3], s[10:11]
	s_wait_xcnt 0x0
	global_store_b64 v0, v[2:3], s[6:7] scope:SCOPE_SYS
.LBB0_3514:                             ;   Parent Loop BB0_2003 Depth=1
                                        ; =>  This Inner Loop Header: Depth=2
	global_load_b64 v[2:3], v0, s[4:5] scope:SCOPE_SYS
	s_wait_loadcnt 0x0
	v_cmp_ne_u64_e32 vcc_lo, s[10:11], v[2:3]
	s_cbranch_vccnz .LBB0_3514
; %bb.3515:                             ;   in Loop: Header=BB0_2003 Depth=1
	s_add_co_i32 s10, s8, 0x2f4
	s_mov_b32 s11, s9
	s_delay_alu instid0(SALU_CYCLE_1)
	v_mov_b64_e32 v[2:3], s[10:11]
	s_wait_xcnt 0x0
	global_store_b64 v0, v[2:3], s[6:7] scope:SCOPE_SYS
.LBB0_3516:                             ;   Parent Loop BB0_2003 Depth=1
                                        ; =>  This Inner Loop Header: Depth=2
	global_load_b64 v[2:3], v0, s[4:5] scope:SCOPE_SYS
	s_wait_loadcnt 0x0
	v_cmp_ne_u64_e32 vcc_lo, s[10:11], v[2:3]
	s_cbranch_vccnz .LBB0_3516
; %bb.3517:                             ;   in Loop: Header=BB0_2003 Depth=1
	s_add_co_i32 s10, s8, 0x2f5
	s_mov_b32 s11, s9
	s_delay_alu instid0(SALU_CYCLE_1)
	v_mov_b64_e32 v[2:3], s[10:11]
	s_wait_xcnt 0x0
	global_store_b64 v0, v[2:3], s[6:7] scope:SCOPE_SYS
.LBB0_3518:                             ;   Parent Loop BB0_2003 Depth=1
                                        ; =>  This Inner Loop Header: Depth=2
	global_load_b64 v[2:3], v0, s[4:5] scope:SCOPE_SYS
	s_wait_loadcnt 0x0
	v_cmp_ne_u64_e32 vcc_lo, s[10:11], v[2:3]
	s_cbranch_vccnz .LBB0_3518
; %bb.3519:                             ;   in Loop: Header=BB0_2003 Depth=1
	s_add_co_i32 s10, s8, 0x2f6
	s_mov_b32 s11, s9
	s_delay_alu instid0(SALU_CYCLE_1)
	v_mov_b64_e32 v[2:3], s[10:11]
	s_wait_xcnt 0x0
	global_store_b64 v0, v[2:3], s[6:7] scope:SCOPE_SYS
.LBB0_3520:                             ;   Parent Loop BB0_2003 Depth=1
                                        ; =>  This Inner Loop Header: Depth=2
	global_load_b64 v[2:3], v0, s[4:5] scope:SCOPE_SYS
	s_wait_loadcnt 0x0
	v_cmp_ne_u64_e32 vcc_lo, s[10:11], v[2:3]
	s_cbranch_vccnz .LBB0_3520
; %bb.3521:                             ;   in Loop: Header=BB0_2003 Depth=1
	s_add_co_i32 s10, s8, 0x2f7
	s_mov_b32 s11, s9
	s_delay_alu instid0(SALU_CYCLE_1)
	v_mov_b64_e32 v[2:3], s[10:11]
	s_wait_xcnt 0x0
	global_store_b64 v0, v[2:3], s[6:7] scope:SCOPE_SYS
.LBB0_3522:                             ;   Parent Loop BB0_2003 Depth=1
                                        ; =>  This Inner Loop Header: Depth=2
	global_load_b64 v[2:3], v0, s[4:5] scope:SCOPE_SYS
	s_wait_loadcnt 0x0
	v_cmp_ne_u64_e32 vcc_lo, s[10:11], v[2:3]
	s_cbranch_vccnz .LBB0_3522
; %bb.3523:                             ;   in Loop: Header=BB0_2003 Depth=1
	s_add_co_i32 s10, s8, 0x2f8
	s_mov_b32 s11, s9
	s_delay_alu instid0(SALU_CYCLE_1)
	v_mov_b64_e32 v[2:3], s[10:11]
	s_wait_xcnt 0x0
	global_store_b64 v0, v[2:3], s[6:7] scope:SCOPE_SYS
.LBB0_3524:                             ;   Parent Loop BB0_2003 Depth=1
                                        ; =>  This Inner Loop Header: Depth=2
	global_load_b64 v[2:3], v0, s[4:5] scope:SCOPE_SYS
	s_wait_loadcnt 0x0
	v_cmp_ne_u64_e32 vcc_lo, s[10:11], v[2:3]
	s_cbranch_vccnz .LBB0_3524
; %bb.3525:                             ;   in Loop: Header=BB0_2003 Depth=1
	s_add_co_i32 s10, s8, 0x2f9
	s_mov_b32 s11, s9
	s_delay_alu instid0(SALU_CYCLE_1)
	v_mov_b64_e32 v[2:3], s[10:11]
	s_wait_xcnt 0x0
	global_store_b64 v0, v[2:3], s[6:7] scope:SCOPE_SYS
.LBB0_3526:                             ;   Parent Loop BB0_2003 Depth=1
                                        ; =>  This Inner Loop Header: Depth=2
	global_load_b64 v[2:3], v0, s[4:5] scope:SCOPE_SYS
	s_wait_loadcnt 0x0
	v_cmp_ne_u64_e32 vcc_lo, s[10:11], v[2:3]
	s_cbranch_vccnz .LBB0_3526
; %bb.3527:                             ;   in Loop: Header=BB0_2003 Depth=1
	s_add_co_i32 s10, s8, 0x2fa
	s_mov_b32 s11, s9
	s_delay_alu instid0(SALU_CYCLE_1)
	v_mov_b64_e32 v[2:3], s[10:11]
	s_wait_xcnt 0x0
	global_store_b64 v0, v[2:3], s[6:7] scope:SCOPE_SYS
.LBB0_3528:                             ;   Parent Loop BB0_2003 Depth=1
                                        ; =>  This Inner Loop Header: Depth=2
	global_load_b64 v[2:3], v0, s[4:5] scope:SCOPE_SYS
	s_wait_loadcnt 0x0
	v_cmp_ne_u64_e32 vcc_lo, s[10:11], v[2:3]
	s_cbranch_vccnz .LBB0_3528
; %bb.3529:                             ;   in Loop: Header=BB0_2003 Depth=1
	s_add_co_i32 s10, s8, 0x2fb
	s_mov_b32 s11, s9
	s_delay_alu instid0(SALU_CYCLE_1)
	v_mov_b64_e32 v[2:3], s[10:11]
	s_wait_xcnt 0x0
	global_store_b64 v0, v[2:3], s[6:7] scope:SCOPE_SYS
.LBB0_3530:                             ;   Parent Loop BB0_2003 Depth=1
                                        ; =>  This Inner Loop Header: Depth=2
	global_load_b64 v[2:3], v0, s[4:5] scope:SCOPE_SYS
	s_wait_loadcnt 0x0
	v_cmp_ne_u64_e32 vcc_lo, s[10:11], v[2:3]
	s_cbranch_vccnz .LBB0_3530
; %bb.3531:                             ;   in Loop: Header=BB0_2003 Depth=1
	s_add_co_i32 s10, s8, 0x2fc
	s_mov_b32 s11, s9
	s_delay_alu instid0(SALU_CYCLE_1)
	v_mov_b64_e32 v[2:3], s[10:11]
	s_wait_xcnt 0x0
	global_store_b64 v0, v[2:3], s[6:7] scope:SCOPE_SYS
.LBB0_3532:                             ;   Parent Loop BB0_2003 Depth=1
                                        ; =>  This Inner Loop Header: Depth=2
	global_load_b64 v[2:3], v0, s[4:5] scope:SCOPE_SYS
	s_wait_loadcnt 0x0
	v_cmp_ne_u64_e32 vcc_lo, s[10:11], v[2:3]
	s_cbranch_vccnz .LBB0_3532
; %bb.3533:                             ;   in Loop: Header=BB0_2003 Depth=1
	s_add_co_i32 s10, s8, 0x2fd
	s_mov_b32 s11, s9
	s_delay_alu instid0(SALU_CYCLE_1)
	v_mov_b64_e32 v[2:3], s[10:11]
	s_wait_xcnt 0x0
	global_store_b64 v0, v[2:3], s[6:7] scope:SCOPE_SYS
.LBB0_3534:                             ;   Parent Loop BB0_2003 Depth=1
                                        ; =>  This Inner Loop Header: Depth=2
	global_load_b64 v[2:3], v0, s[4:5] scope:SCOPE_SYS
	s_wait_loadcnt 0x0
	v_cmp_ne_u64_e32 vcc_lo, s[10:11], v[2:3]
	s_cbranch_vccnz .LBB0_3534
; %bb.3535:                             ;   in Loop: Header=BB0_2003 Depth=1
	s_add_co_i32 s10, s8, 0x2fe
	s_mov_b32 s11, s9
	s_delay_alu instid0(SALU_CYCLE_1)
	v_mov_b64_e32 v[2:3], s[10:11]
	s_wait_xcnt 0x0
	global_store_b64 v0, v[2:3], s[6:7] scope:SCOPE_SYS
.LBB0_3536:                             ;   Parent Loop BB0_2003 Depth=1
                                        ; =>  This Inner Loop Header: Depth=2
	global_load_b64 v[2:3], v0, s[4:5] scope:SCOPE_SYS
	s_wait_loadcnt 0x0
	v_cmp_ne_u64_e32 vcc_lo, s[10:11], v[2:3]
	s_cbranch_vccnz .LBB0_3536
; %bb.3537:                             ;   in Loop: Header=BB0_2003 Depth=1
	s_add_co_i32 s10, s8, 0x2ff
	s_mov_b32 s11, s9
	s_delay_alu instid0(SALU_CYCLE_1)
	v_mov_b64_e32 v[2:3], s[10:11]
	s_wait_xcnt 0x0
	global_store_b64 v0, v[2:3], s[6:7] scope:SCOPE_SYS
.LBB0_3538:                             ;   Parent Loop BB0_2003 Depth=1
                                        ; =>  This Inner Loop Header: Depth=2
	global_load_b64 v[2:3], v0, s[4:5] scope:SCOPE_SYS
	s_wait_loadcnt 0x0
	v_cmp_ne_u64_e32 vcc_lo, s[10:11], v[2:3]
	s_cbranch_vccnz .LBB0_3538
; %bb.3539:                             ;   in Loop: Header=BB0_2003 Depth=1
	s_add_co_i32 s10, s8, 0x300
	s_mov_b32 s11, s9
	s_delay_alu instid0(SALU_CYCLE_1)
	v_mov_b64_e32 v[2:3], s[10:11]
	s_wait_xcnt 0x0
	global_store_b64 v0, v[2:3], s[6:7] scope:SCOPE_SYS
.LBB0_3540:                             ;   Parent Loop BB0_2003 Depth=1
                                        ; =>  This Inner Loop Header: Depth=2
	global_load_b64 v[2:3], v0, s[4:5] scope:SCOPE_SYS
	s_wait_loadcnt 0x0
	v_cmp_ne_u64_e32 vcc_lo, s[10:11], v[2:3]
	s_cbranch_vccnz .LBB0_3540
; %bb.3541:                             ;   in Loop: Header=BB0_2003 Depth=1
	s_add_co_i32 s10, s8, 0x301
	s_mov_b32 s11, s9
	s_delay_alu instid0(SALU_CYCLE_1)
	v_mov_b64_e32 v[2:3], s[10:11]
	s_wait_xcnt 0x0
	global_store_b64 v0, v[2:3], s[6:7] scope:SCOPE_SYS
.LBB0_3542:                             ;   Parent Loop BB0_2003 Depth=1
                                        ; =>  This Inner Loop Header: Depth=2
	global_load_b64 v[2:3], v0, s[4:5] scope:SCOPE_SYS
	s_wait_loadcnt 0x0
	v_cmp_ne_u64_e32 vcc_lo, s[10:11], v[2:3]
	s_cbranch_vccnz .LBB0_3542
; %bb.3543:                             ;   in Loop: Header=BB0_2003 Depth=1
	s_add_co_i32 s10, s8, 0x302
	s_mov_b32 s11, s9
	s_delay_alu instid0(SALU_CYCLE_1)
	v_mov_b64_e32 v[2:3], s[10:11]
	s_wait_xcnt 0x0
	global_store_b64 v0, v[2:3], s[6:7] scope:SCOPE_SYS
.LBB0_3544:                             ;   Parent Loop BB0_2003 Depth=1
                                        ; =>  This Inner Loop Header: Depth=2
	global_load_b64 v[2:3], v0, s[4:5] scope:SCOPE_SYS
	s_wait_loadcnt 0x0
	v_cmp_ne_u64_e32 vcc_lo, s[10:11], v[2:3]
	s_cbranch_vccnz .LBB0_3544
; %bb.3545:                             ;   in Loop: Header=BB0_2003 Depth=1
	s_add_co_i32 s10, s8, 0x303
	s_mov_b32 s11, s9
	s_delay_alu instid0(SALU_CYCLE_1)
	v_mov_b64_e32 v[2:3], s[10:11]
	s_wait_xcnt 0x0
	global_store_b64 v0, v[2:3], s[6:7] scope:SCOPE_SYS
.LBB0_3546:                             ;   Parent Loop BB0_2003 Depth=1
                                        ; =>  This Inner Loop Header: Depth=2
	global_load_b64 v[2:3], v0, s[4:5] scope:SCOPE_SYS
	s_wait_loadcnt 0x0
	v_cmp_ne_u64_e32 vcc_lo, s[10:11], v[2:3]
	s_cbranch_vccnz .LBB0_3546
; %bb.3547:                             ;   in Loop: Header=BB0_2003 Depth=1
	s_add_co_i32 s10, s8, 0x304
	s_mov_b32 s11, s9
	s_delay_alu instid0(SALU_CYCLE_1)
	v_mov_b64_e32 v[2:3], s[10:11]
	s_wait_xcnt 0x0
	global_store_b64 v0, v[2:3], s[6:7] scope:SCOPE_SYS
.LBB0_3548:                             ;   Parent Loop BB0_2003 Depth=1
                                        ; =>  This Inner Loop Header: Depth=2
	global_load_b64 v[2:3], v0, s[4:5] scope:SCOPE_SYS
	s_wait_loadcnt 0x0
	v_cmp_ne_u64_e32 vcc_lo, s[10:11], v[2:3]
	s_cbranch_vccnz .LBB0_3548
; %bb.3549:                             ;   in Loop: Header=BB0_2003 Depth=1
	s_add_co_i32 s10, s8, 0x305
	s_mov_b32 s11, s9
	s_delay_alu instid0(SALU_CYCLE_1)
	v_mov_b64_e32 v[2:3], s[10:11]
	s_wait_xcnt 0x0
	global_store_b64 v0, v[2:3], s[6:7] scope:SCOPE_SYS
.LBB0_3550:                             ;   Parent Loop BB0_2003 Depth=1
                                        ; =>  This Inner Loop Header: Depth=2
	global_load_b64 v[2:3], v0, s[4:5] scope:SCOPE_SYS
	s_wait_loadcnt 0x0
	v_cmp_ne_u64_e32 vcc_lo, s[10:11], v[2:3]
	s_cbranch_vccnz .LBB0_3550
; %bb.3551:                             ;   in Loop: Header=BB0_2003 Depth=1
	s_add_co_i32 s10, s8, 0x306
	s_mov_b32 s11, s9
	s_delay_alu instid0(SALU_CYCLE_1)
	v_mov_b64_e32 v[2:3], s[10:11]
	s_wait_xcnt 0x0
	global_store_b64 v0, v[2:3], s[6:7] scope:SCOPE_SYS
.LBB0_3552:                             ;   Parent Loop BB0_2003 Depth=1
                                        ; =>  This Inner Loop Header: Depth=2
	global_load_b64 v[2:3], v0, s[4:5] scope:SCOPE_SYS
	s_wait_loadcnt 0x0
	v_cmp_ne_u64_e32 vcc_lo, s[10:11], v[2:3]
	s_cbranch_vccnz .LBB0_3552
; %bb.3553:                             ;   in Loop: Header=BB0_2003 Depth=1
	s_add_co_i32 s10, s8, 0x307
	s_mov_b32 s11, s9
	s_delay_alu instid0(SALU_CYCLE_1)
	v_mov_b64_e32 v[2:3], s[10:11]
	s_wait_xcnt 0x0
	global_store_b64 v0, v[2:3], s[6:7] scope:SCOPE_SYS
.LBB0_3554:                             ;   Parent Loop BB0_2003 Depth=1
                                        ; =>  This Inner Loop Header: Depth=2
	global_load_b64 v[2:3], v0, s[4:5] scope:SCOPE_SYS
	s_wait_loadcnt 0x0
	v_cmp_ne_u64_e32 vcc_lo, s[10:11], v[2:3]
	s_cbranch_vccnz .LBB0_3554
; %bb.3555:                             ;   in Loop: Header=BB0_2003 Depth=1
	s_add_co_i32 s10, s8, 0x308
	s_mov_b32 s11, s9
	s_delay_alu instid0(SALU_CYCLE_1)
	v_mov_b64_e32 v[2:3], s[10:11]
	s_wait_xcnt 0x0
	global_store_b64 v0, v[2:3], s[6:7] scope:SCOPE_SYS
.LBB0_3556:                             ;   Parent Loop BB0_2003 Depth=1
                                        ; =>  This Inner Loop Header: Depth=2
	global_load_b64 v[2:3], v0, s[4:5] scope:SCOPE_SYS
	s_wait_loadcnt 0x0
	v_cmp_ne_u64_e32 vcc_lo, s[10:11], v[2:3]
	s_cbranch_vccnz .LBB0_3556
; %bb.3557:                             ;   in Loop: Header=BB0_2003 Depth=1
	s_add_co_i32 s10, s8, 0x309
	s_mov_b32 s11, s9
	s_delay_alu instid0(SALU_CYCLE_1)
	v_mov_b64_e32 v[2:3], s[10:11]
	s_wait_xcnt 0x0
	global_store_b64 v0, v[2:3], s[6:7] scope:SCOPE_SYS
.LBB0_3558:                             ;   Parent Loop BB0_2003 Depth=1
                                        ; =>  This Inner Loop Header: Depth=2
	global_load_b64 v[2:3], v0, s[4:5] scope:SCOPE_SYS
	s_wait_loadcnt 0x0
	v_cmp_ne_u64_e32 vcc_lo, s[10:11], v[2:3]
	s_cbranch_vccnz .LBB0_3558
; %bb.3559:                             ;   in Loop: Header=BB0_2003 Depth=1
	s_add_co_i32 s10, s8, 0x30a
	s_mov_b32 s11, s9
	s_delay_alu instid0(SALU_CYCLE_1)
	v_mov_b64_e32 v[2:3], s[10:11]
	s_wait_xcnt 0x0
	global_store_b64 v0, v[2:3], s[6:7] scope:SCOPE_SYS
.LBB0_3560:                             ;   Parent Loop BB0_2003 Depth=1
                                        ; =>  This Inner Loop Header: Depth=2
	global_load_b64 v[2:3], v0, s[4:5] scope:SCOPE_SYS
	s_wait_loadcnt 0x0
	v_cmp_ne_u64_e32 vcc_lo, s[10:11], v[2:3]
	s_cbranch_vccnz .LBB0_3560
; %bb.3561:                             ;   in Loop: Header=BB0_2003 Depth=1
	s_add_co_i32 s10, s8, 0x30b
	s_mov_b32 s11, s9
	s_delay_alu instid0(SALU_CYCLE_1)
	v_mov_b64_e32 v[2:3], s[10:11]
	s_wait_xcnt 0x0
	global_store_b64 v0, v[2:3], s[6:7] scope:SCOPE_SYS
.LBB0_3562:                             ;   Parent Loop BB0_2003 Depth=1
                                        ; =>  This Inner Loop Header: Depth=2
	global_load_b64 v[2:3], v0, s[4:5] scope:SCOPE_SYS
	s_wait_loadcnt 0x0
	v_cmp_ne_u64_e32 vcc_lo, s[10:11], v[2:3]
	s_cbranch_vccnz .LBB0_3562
; %bb.3563:                             ;   in Loop: Header=BB0_2003 Depth=1
	s_add_co_i32 s10, s8, 0x30c
	s_mov_b32 s11, s9
	s_delay_alu instid0(SALU_CYCLE_1)
	v_mov_b64_e32 v[2:3], s[10:11]
	s_wait_xcnt 0x0
	global_store_b64 v0, v[2:3], s[6:7] scope:SCOPE_SYS
.LBB0_3564:                             ;   Parent Loop BB0_2003 Depth=1
                                        ; =>  This Inner Loop Header: Depth=2
	global_load_b64 v[2:3], v0, s[4:5] scope:SCOPE_SYS
	s_wait_loadcnt 0x0
	v_cmp_ne_u64_e32 vcc_lo, s[10:11], v[2:3]
	s_cbranch_vccnz .LBB0_3564
; %bb.3565:                             ;   in Loop: Header=BB0_2003 Depth=1
	s_add_co_i32 s10, s8, 0x30d
	s_mov_b32 s11, s9
	s_delay_alu instid0(SALU_CYCLE_1)
	v_mov_b64_e32 v[2:3], s[10:11]
	s_wait_xcnt 0x0
	global_store_b64 v0, v[2:3], s[6:7] scope:SCOPE_SYS
.LBB0_3566:                             ;   Parent Loop BB0_2003 Depth=1
                                        ; =>  This Inner Loop Header: Depth=2
	global_load_b64 v[2:3], v0, s[4:5] scope:SCOPE_SYS
	s_wait_loadcnt 0x0
	v_cmp_ne_u64_e32 vcc_lo, s[10:11], v[2:3]
	s_cbranch_vccnz .LBB0_3566
; %bb.3567:                             ;   in Loop: Header=BB0_2003 Depth=1
	s_add_co_i32 s10, s8, 0x30e
	s_mov_b32 s11, s9
	s_delay_alu instid0(SALU_CYCLE_1)
	v_mov_b64_e32 v[2:3], s[10:11]
	s_wait_xcnt 0x0
	global_store_b64 v0, v[2:3], s[6:7] scope:SCOPE_SYS
.LBB0_3568:                             ;   Parent Loop BB0_2003 Depth=1
                                        ; =>  This Inner Loop Header: Depth=2
	global_load_b64 v[2:3], v0, s[4:5] scope:SCOPE_SYS
	s_wait_loadcnt 0x0
	v_cmp_ne_u64_e32 vcc_lo, s[10:11], v[2:3]
	s_cbranch_vccnz .LBB0_3568
; %bb.3569:                             ;   in Loop: Header=BB0_2003 Depth=1
	s_add_co_i32 s10, s8, 0x30f
	s_mov_b32 s11, s9
	s_delay_alu instid0(SALU_CYCLE_1)
	v_mov_b64_e32 v[2:3], s[10:11]
	s_wait_xcnt 0x0
	global_store_b64 v0, v[2:3], s[6:7] scope:SCOPE_SYS
.LBB0_3570:                             ;   Parent Loop BB0_2003 Depth=1
                                        ; =>  This Inner Loop Header: Depth=2
	global_load_b64 v[2:3], v0, s[4:5] scope:SCOPE_SYS
	s_wait_loadcnt 0x0
	v_cmp_ne_u64_e32 vcc_lo, s[10:11], v[2:3]
	s_cbranch_vccnz .LBB0_3570
; %bb.3571:                             ;   in Loop: Header=BB0_2003 Depth=1
	s_add_co_i32 s10, s8, 0x310
	s_mov_b32 s11, s9
	s_delay_alu instid0(SALU_CYCLE_1)
	v_mov_b64_e32 v[2:3], s[10:11]
	s_wait_xcnt 0x0
	global_store_b64 v0, v[2:3], s[6:7] scope:SCOPE_SYS
.LBB0_3572:                             ;   Parent Loop BB0_2003 Depth=1
                                        ; =>  This Inner Loop Header: Depth=2
	global_load_b64 v[2:3], v0, s[4:5] scope:SCOPE_SYS
	s_wait_loadcnt 0x0
	v_cmp_ne_u64_e32 vcc_lo, s[10:11], v[2:3]
	s_cbranch_vccnz .LBB0_3572
; %bb.3573:                             ;   in Loop: Header=BB0_2003 Depth=1
	s_add_co_i32 s10, s8, 0x311
	s_mov_b32 s11, s9
	s_delay_alu instid0(SALU_CYCLE_1)
	v_mov_b64_e32 v[2:3], s[10:11]
	s_wait_xcnt 0x0
	global_store_b64 v0, v[2:3], s[6:7] scope:SCOPE_SYS
.LBB0_3574:                             ;   Parent Loop BB0_2003 Depth=1
                                        ; =>  This Inner Loop Header: Depth=2
	global_load_b64 v[2:3], v0, s[4:5] scope:SCOPE_SYS
	s_wait_loadcnt 0x0
	v_cmp_ne_u64_e32 vcc_lo, s[10:11], v[2:3]
	s_cbranch_vccnz .LBB0_3574
; %bb.3575:                             ;   in Loop: Header=BB0_2003 Depth=1
	s_add_co_i32 s10, s8, 0x312
	s_mov_b32 s11, s9
	s_delay_alu instid0(SALU_CYCLE_1)
	v_mov_b64_e32 v[2:3], s[10:11]
	s_wait_xcnt 0x0
	global_store_b64 v0, v[2:3], s[6:7] scope:SCOPE_SYS
.LBB0_3576:                             ;   Parent Loop BB0_2003 Depth=1
                                        ; =>  This Inner Loop Header: Depth=2
	global_load_b64 v[2:3], v0, s[4:5] scope:SCOPE_SYS
	s_wait_loadcnt 0x0
	v_cmp_ne_u64_e32 vcc_lo, s[10:11], v[2:3]
	s_cbranch_vccnz .LBB0_3576
; %bb.3577:                             ;   in Loop: Header=BB0_2003 Depth=1
	s_add_co_i32 s10, s8, 0x313
	s_mov_b32 s11, s9
	s_delay_alu instid0(SALU_CYCLE_1)
	v_mov_b64_e32 v[2:3], s[10:11]
	s_wait_xcnt 0x0
	global_store_b64 v0, v[2:3], s[6:7] scope:SCOPE_SYS
.LBB0_3578:                             ;   Parent Loop BB0_2003 Depth=1
                                        ; =>  This Inner Loop Header: Depth=2
	global_load_b64 v[2:3], v0, s[4:5] scope:SCOPE_SYS
	s_wait_loadcnt 0x0
	v_cmp_ne_u64_e32 vcc_lo, s[10:11], v[2:3]
	s_cbranch_vccnz .LBB0_3578
; %bb.3579:                             ;   in Loop: Header=BB0_2003 Depth=1
	s_add_co_i32 s10, s8, 0x314
	s_mov_b32 s11, s9
	s_delay_alu instid0(SALU_CYCLE_1)
	v_mov_b64_e32 v[2:3], s[10:11]
	s_wait_xcnt 0x0
	global_store_b64 v0, v[2:3], s[6:7] scope:SCOPE_SYS
.LBB0_3580:                             ;   Parent Loop BB0_2003 Depth=1
                                        ; =>  This Inner Loop Header: Depth=2
	global_load_b64 v[2:3], v0, s[4:5] scope:SCOPE_SYS
	s_wait_loadcnt 0x0
	v_cmp_ne_u64_e32 vcc_lo, s[10:11], v[2:3]
	s_cbranch_vccnz .LBB0_3580
; %bb.3581:                             ;   in Loop: Header=BB0_2003 Depth=1
	s_add_co_i32 s10, s8, 0x315
	s_mov_b32 s11, s9
	s_delay_alu instid0(SALU_CYCLE_1)
	v_mov_b64_e32 v[2:3], s[10:11]
	s_wait_xcnt 0x0
	global_store_b64 v0, v[2:3], s[6:7] scope:SCOPE_SYS
.LBB0_3582:                             ;   Parent Loop BB0_2003 Depth=1
                                        ; =>  This Inner Loop Header: Depth=2
	global_load_b64 v[2:3], v0, s[4:5] scope:SCOPE_SYS
	s_wait_loadcnt 0x0
	v_cmp_ne_u64_e32 vcc_lo, s[10:11], v[2:3]
	s_cbranch_vccnz .LBB0_3582
; %bb.3583:                             ;   in Loop: Header=BB0_2003 Depth=1
	s_add_co_i32 s10, s8, 0x316
	s_mov_b32 s11, s9
	s_delay_alu instid0(SALU_CYCLE_1)
	v_mov_b64_e32 v[2:3], s[10:11]
	s_wait_xcnt 0x0
	global_store_b64 v0, v[2:3], s[6:7] scope:SCOPE_SYS
.LBB0_3584:                             ;   Parent Loop BB0_2003 Depth=1
                                        ; =>  This Inner Loop Header: Depth=2
	global_load_b64 v[2:3], v0, s[4:5] scope:SCOPE_SYS
	s_wait_loadcnt 0x0
	v_cmp_ne_u64_e32 vcc_lo, s[10:11], v[2:3]
	s_cbranch_vccnz .LBB0_3584
; %bb.3585:                             ;   in Loop: Header=BB0_2003 Depth=1
	s_add_co_i32 s10, s8, 0x317
	s_mov_b32 s11, s9
	s_delay_alu instid0(SALU_CYCLE_1)
	v_mov_b64_e32 v[2:3], s[10:11]
	s_wait_xcnt 0x0
	global_store_b64 v0, v[2:3], s[6:7] scope:SCOPE_SYS
.LBB0_3586:                             ;   Parent Loop BB0_2003 Depth=1
                                        ; =>  This Inner Loop Header: Depth=2
	global_load_b64 v[2:3], v0, s[4:5] scope:SCOPE_SYS
	s_wait_loadcnt 0x0
	v_cmp_ne_u64_e32 vcc_lo, s[10:11], v[2:3]
	s_cbranch_vccnz .LBB0_3586
; %bb.3587:                             ;   in Loop: Header=BB0_2003 Depth=1
	s_add_co_i32 s10, s8, 0x318
	s_mov_b32 s11, s9
	s_delay_alu instid0(SALU_CYCLE_1)
	v_mov_b64_e32 v[2:3], s[10:11]
	s_wait_xcnt 0x0
	global_store_b64 v0, v[2:3], s[6:7] scope:SCOPE_SYS
.LBB0_3588:                             ;   Parent Loop BB0_2003 Depth=1
                                        ; =>  This Inner Loop Header: Depth=2
	global_load_b64 v[2:3], v0, s[4:5] scope:SCOPE_SYS
	s_wait_loadcnt 0x0
	v_cmp_ne_u64_e32 vcc_lo, s[10:11], v[2:3]
	s_cbranch_vccnz .LBB0_3588
; %bb.3589:                             ;   in Loop: Header=BB0_2003 Depth=1
	s_add_co_i32 s10, s8, 0x319
	s_mov_b32 s11, s9
	s_delay_alu instid0(SALU_CYCLE_1)
	v_mov_b64_e32 v[2:3], s[10:11]
	s_wait_xcnt 0x0
	global_store_b64 v0, v[2:3], s[6:7] scope:SCOPE_SYS
.LBB0_3590:                             ;   Parent Loop BB0_2003 Depth=1
                                        ; =>  This Inner Loop Header: Depth=2
	global_load_b64 v[2:3], v0, s[4:5] scope:SCOPE_SYS
	s_wait_loadcnt 0x0
	v_cmp_ne_u64_e32 vcc_lo, s[10:11], v[2:3]
	s_cbranch_vccnz .LBB0_3590
; %bb.3591:                             ;   in Loop: Header=BB0_2003 Depth=1
	s_add_co_i32 s10, s8, 0x31a
	s_mov_b32 s11, s9
	s_delay_alu instid0(SALU_CYCLE_1)
	v_mov_b64_e32 v[2:3], s[10:11]
	s_wait_xcnt 0x0
	global_store_b64 v0, v[2:3], s[6:7] scope:SCOPE_SYS
.LBB0_3592:                             ;   Parent Loop BB0_2003 Depth=1
                                        ; =>  This Inner Loop Header: Depth=2
	global_load_b64 v[2:3], v0, s[4:5] scope:SCOPE_SYS
	s_wait_loadcnt 0x0
	v_cmp_ne_u64_e32 vcc_lo, s[10:11], v[2:3]
	s_cbranch_vccnz .LBB0_3592
; %bb.3593:                             ;   in Loop: Header=BB0_2003 Depth=1
	s_add_co_i32 s10, s8, 0x31b
	s_mov_b32 s11, s9
	s_delay_alu instid0(SALU_CYCLE_1)
	v_mov_b64_e32 v[2:3], s[10:11]
	s_wait_xcnt 0x0
	global_store_b64 v0, v[2:3], s[6:7] scope:SCOPE_SYS
.LBB0_3594:                             ;   Parent Loop BB0_2003 Depth=1
                                        ; =>  This Inner Loop Header: Depth=2
	global_load_b64 v[2:3], v0, s[4:5] scope:SCOPE_SYS
	s_wait_loadcnt 0x0
	v_cmp_ne_u64_e32 vcc_lo, s[10:11], v[2:3]
	s_cbranch_vccnz .LBB0_3594
; %bb.3595:                             ;   in Loop: Header=BB0_2003 Depth=1
	s_add_co_i32 s10, s8, 0x31c
	s_mov_b32 s11, s9
	s_delay_alu instid0(SALU_CYCLE_1)
	v_mov_b64_e32 v[2:3], s[10:11]
	s_wait_xcnt 0x0
	global_store_b64 v0, v[2:3], s[6:7] scope:SCOPE_SYS
.LBB0_3596:                             ;   Parent Loop BB0_2003 Depth=1
                                        ; =>  This Inner Loop Header: Depth=2
	global_load_b64 v[2:3], v0, s[4:5] scope:SCOPE_SYS
	s_wait_loadcnt 0x0
	v_cmp_ne_u64_e32 vcc_lo, s[10:11], v[2:3]
	s_cbranch_vccnz .LBB0_3596
; %bb.3597:                             ;   in Loop: Header=BB0_2003 Depth=1
	s_add_co_i32 s10, s8, 0x31d
	s_mov_b32 s11, s9
	s_delay_alu instid0(SALU_CYCLE_1)
	v_mov_b64_e32 v[2:3], s[10:11]
	s_wait_xcnt 0x0
	global_store_b64 v0, v[2:3], s[6:7] scope:SCOPE_SYS
.LBB0_3598:                             ;   Parent Loop BB0_2003 Depth=1
                                        ; =>  This Inner Loop Header: Depth=2
	global_load_b64 v[2:3], v0, s[4:5] scope:SCOPE_SYS
	s_wait_loadcnt 0x0
	v_cmp_ne_u64_e32 vcc_lo, s[10:11], v[2:3]
	s_cbranch_vccnz .LBB0_3598
; %bb.3599:                             ;   in Loop: Header=BB0_2003 Depth=1
	s_add_co_i32 s10, s8, 0x31e
	s_mov_b32 s11, s9
	s_delay_alu instid0(SALU_CYCLE_1)
	v_mov_b64_e32 v[2:3], s[10:11]
	s_wait_xcnt 0x0
	global_store_b64 v0, v[2:3], s[6:7] scope:SCOPE_SYS
.LBB0_3600:                             ;   Parent Loop BB0_2003 Depth=1
                                        ; =>  This Inner Loop Header: Depth=2
	global_load_b64 v[2:3], v0, s[4:5] scope:SCOPE_SYS
	s_wait_loadcnt 0x0
	v_cmp_ne_u64_e32 vcc_lo, s[10:11], v[2:3]
	s_cbranch_vccnz .LBB0_3600
; %bb.3601:                             ;   in Loop: Header=BB0_2003 Depth=1
	s_add_co_i32 s10, s8, 0x31f
	s_mov_b32 s11, s9
	s_delay_alu instid0(SALU_CYCLE_1)
	v_mov_b64_e32 v[2:3], s[10:11]
	s_wait_xcnt 0x0
	global_store_b64 v0, v[2:3], s[6:7] scope:SCOPE_SYS
.LBB0_3602:                             ;   Parent Loop BB0_2003 Depth=1
                                        ; =>  This Inner Loop Header: Depth=2
	global_load_b64 v[2:3], v0, s[4:5] scope:SCOPE_SYS
	s_wait_loadcnt 0x0
	v_cmp_ne_u64_e32 vcc_lo, s[10:11], v[2:3]
	s_cbranch_vccnz .LBB0_3602
; %bb.3603:                             ;   in Loop: Header=BB0_2003 Depth=1
	s_add_co_i32 s10, s8, 0x320
	s_mov_b32 s11, s9
	s_delay_alu instid0(SALU_CYCLE_1)
	v_mov_b64_e32 v[2:3], s[10:11]
	s_wait_xcnt 0x0
	global_store_b64 v0, v[2:3], s[6:7] scope:SCOPE_SYS
.LBB0_3604:                             ;   Parent Loop BB0_2003 Depth=1
                                        ; =>  This Inner Loop Header: Depth=2
	global_load_b64 v[2:3], v0, s[4:5] scope:SCOPE_SYS
	s_wait_loadcnt 0x0
	v_cmp_ne_u64_e32 vcc_lo, s[10:11], v[2:3]
	s_cbranch_vccnz .LBB0_3604
; %bb.3605:                             ;   in Loop: Header=BB0_2003 Depth=1
	s_add_co_i32 s10, s8, 0x321
	s_mov_b32 s11, s9
	s_delay_alu instid0(SALU_CYCLE_1)
	v_mov_b64_e32 v[2:3], s[10:11]
	s_wait_xcnt 0x0
	global_store_b64 v0, v[2:3], s[6:7] scope:SCOPE_SYS
.LBB0_3606:                             ;   Parent Loop BB0_2003 Depth=1
                                        ; =>  This Inner Loop Header: Depth=2
	global_load_b64 v[2:3], v0, s[4:5] scope:SCOPE_SYS
	s_wait_loadcnt 0x0
	v_cmp_ne_u64_e32 vcc_lo, s[10:11], v[2:3]
	s_cbranch_vccnz .LBB0_3606
; %bb.3607:                             ;   in Loop: Header=BB0_2003 Depth=1
	s_add_co_i32 s10, s8, 0x322
	s_mov_b32 s11, s9
	s_delay_alu instid0(SALU_CYCLE_1)
	v_mov_b64_e32 v[2:3], s[10:11]
	s_wait_xcnt 0x0
	global_store_b64 v0, v[2:3], s[6:7] scope:SCOPE_SYS
.LBB0_3608:                             ;   Parent Loop BB0_2003 Depth=1
                                        ; =>  This Inner Loop Header: Depth=2
	global_load_b64 v[2:3], v0, s[4:5] scope:SCOPE_SYS
	s_wait_loadcnt 0x0
	v_cmp_ne_u64_e32 vcc_lo, s[10:11], v[2:3]
	s_cbranch_vccnz .LBB0_3608
; %bb.3609:                             ;   in Loop: Header=BB0_2003 Depth=1
	s_add_co_i32 s10, s8, 0x323
	s_mov_b32 s11, s9
	s_delay_alu instid0(SALU_CYCLE_1)
	v_mov_b64_e32 v[2:3], s[10:11]
	s_wait_xcnt 0x0
	global_store_b64 v0, v[2:3], s[6:7] scope:SCOPE_SYS
.LBB0_3610:                             ;   Parent Loop BB0_2003 Depth=1
                                        ; =>  This Inner Loop Header: Depth=2
	global_load_b64 v[2:3], v0, s[4:5] scope:SCOPE_SYS
	s_wait_loadcnt 0x0
	v_cmp_ne_u64_e32 vcc_lo, s[10:11], v[2:3]
	s_cbranch_vccnz .LBB0_3610
; %bb.3611:                             ;   in Loop: Header=BB0_2003 Depth=1
	s_add_co_i32 s10, s8, 0x324
	s_mov_b32 s11, s9
	s_delay_alu instid0(SALU_CYCLE_1)
	v_mov_b64_e32 v[2:3], s[10:11]
	s_wait_xcnt 0x0
	global_store_b64 v0, v[2:3], s[6:7] scope:SCOPE_SYS
.LBB0_3612:                             ;   Parent Loop BB0_2003 Depth=1
                                        ; =>  This Inner Loop Header: Depth=2
	global_load_b64 v[2:3], v0, s[4:5] scope:SCOPE_SYS
	s_wait_loadcnt 0x0
	v_cmp_ne_u64_e32 vcc_lo, s[10:11], v[2:3]
	s_cbranch_vccnz .LBB0_3612
; %bb.3613:                             ;   in Loop: Header=BB0_2003 Depth=1
	s_add_co_i32 s10, s8, 0x325
	s_mov_b32 s11, s9
	s_delay_alu instid0(SALU_CYCLE_1)
	v_mov_b64_e32 v[2:3], s[10:11]
	s_wait_xcnt 0x0
	global_store_b64 v0, v[2:3], s[6:7] scope:SCOPE_SYS
.LBB0_3614:                             ;   Parent Loop BB0_2003 Depth=1
                                        ; =>  This Inner Loop Header: Depth=2
	global_load_b64 v[2:3], v0, s[4:5] scope:SCOPE_SYS
	s_wait_loadcnt 0x0
	v_cmp_ne_u64_e32 vcc_lo, s[10:11], v[2:3]
	s_cbranch_vccnz .LBB0_3614
; %bb.3615:                             ;   in Loop: Header=BB0_2003 Depth=1
	s_add_co_i32 s10, s8, 0x326
	s_mov_b32 s11, s9
	s_delay_alu instid0(SALU_CYCLE_1)
	v_mov_b64_e32 v[2:3], s[10:11]
	s_wait_xcnt 0x0
	global_store_b64 v0, v[2:3], s[6:7] scope:SCOPE_SYS
.LBB0_3616:                             ;   Parent Loop BB0_2003 Depth=1
                                        ; =>  This Inner Loop Header: Depth=2
	global_load_b64 v[2:3], v0, s[4:5] scope:SCOPE_SYS
	s_wait_loadcnt 0x0
	v_cmp_ne_u64_e32 vcc_lo, s[10:11], v[2:3]
	s_cbranch_vccnz .LBB0_3616
; %bb.3617:                             ;   in Loop: Header=BB0_2003 Depth=1
	s_add_co_i32 s10, s8, 0x327
	s_mov_b32 s11, s9
	s_delay_alu instid0(SALU_CYCLE_1)
	v_mov_b64_e32 v[2:3], s[10:11]
	s_wait_xcnt 0x0
	global_store_b64 v0, v[2:3], s[6:7] scope:SCOPE_SYS
.LBB0_3618:                             ;   Parent Loop BB0_2003 Depth=1
                                        ; =>  This Inner Loop Header: Depth=2
	global_load_b64 v[2:3], v0, s[4:5] scope:SCOPE_SYS
	s_wait_loadcnt 0x0
	v_cmp_ne_u64_e32 vcc_lo, s[10:11], v[2:3]
	s_cbranch_vccnz .LBB0_3618
; %bb.3619:                             ;   in Loop: Header=BB0_2003 Depth=1
	s_add_co_i32 s10, s8, 0x328
	s_mov_b32 s11, s9
	s_delay_alu instid0(SALU_CYCLE_1)
	v_mov_b64_e32 v[2:3], s[10:11]
	s_wait_xcnt 0x0
	global_store_b64 v0, v[2:3], s[6:7] scope:SCOPE_SYS
.LBB0_3620:                             ;   Parent Loop BB0_2003 Depth=1
                                        ; =>  This Inner Loop Header: Depth=2
	global_load_b64 v[2:3], v0, s[4:5] scope:SCOPE_SYS
	s_wait_loadcnt 0x0
	v_cmp_ne_u64_e32 vcc_lo, s[10:11], v[2:3]
	s_cbranch_vccnz .LBB0_3620
; %bb.3621:                             ;   in Loop: Header=BB0_2003 Depth=1
	s_add_co_i32 s10, s8, 0x329
	s_mov_b32 s11, s9
	s_delay_alu instid0(SALU_CYCLE_1)
	v_mov_b64_e32 v[2:3], s[10:11]
	s_wait_xcnt 0x0
	global_store_b64 v0, v[2:3], s[6:7] scope:SCOPE_SYS
.LBB0_3622:                             ;   Parent Loop BB0_2003 Depth=1
                                        ; =>  This Inner Loop Header: Depth=2
	global_load_b64 v[2:3], v0, s[4:5] scope:SCOPE_SYS
	s_wait_loadcnt 0x0
	v_cmp_ne_u64_e32 vcc_lo, s[10:11], v[2:3]
	s_cbranch_vccnz .LBB0_3622
; %bb.3623:                             ;   in Loop: Header=BB0_2003 Depth=1
	s_add_co_i32 s10, s8, 0x32a
	s_mov_b32 s11, s9
	s_delay_alu instid0(SALU_CYCLE_1)
	v_mov_b64_e32 v[2:3], s[10:11]
	s_wait_xcnt 0x0
	global_store_b64 v0, v[2:3], s[6:7] scope:SCOPE_SYS
.LBB0_3624:                             ;   Parent Loop BB0_2003 Depth=1
                                        ; =>  This Inner Loop Header: Depth=2
	global_load_b64 v[2:3], v0, s[4:5] scope:SCOPE_SYS
	s_wait_loadcnt 0x0
	v_cmp_ne_u64_e32 vcc_lo, s[10:11], v[2:3]
	s_cbranch_vccnz .LBB0_3624
; %bb.3625:                             ;   in Loop: Header=BB0_2003 Depth=1
	s_add_co_i32 s10, s8, 0x32b
	s_mov_b32 s11, s9
	s_delay_alu instid0(SALU_CYCLE_1)
	v_mov_b64_e32 v[2:3], s[10:11]
	s_wait_xcnt 0x0
	global_store_b64 v0, v[2:3], s[6:7] scope:SCOPE_SYS
.LBB0_3626:                             ;   Parent Loop BB0_2003 Depth=1
                                        ; =>  This Inner Loop Header: Depth=2
	global_load_b64 v[2:3], v0, s[4:5] scope:SCOPE_SYS
	s_wait_loadcnt 0x0
	v_cmp_ne_u64_e32 vcc_lo, s[10:11], v[2:3]
	s_cbranch_vccnz .LBB0_3626
; %bb.3627:                             ;   in Loop: Header=BB0_2003 Depth=1
	s_add_co_i32 s10, s8, 0x32c
	s_mov_b32 s11, s9
	s_delay_alu instid0(SALU_CYCLE_1)
	v_mov_b64_e32 v[2:3], s[10:11]
	s_wait_xcnt 0x0
	global_store_b64 v0, v[2:3], s[6:7] scope:SCOPE_SYS
.LBB0_3628:                             ;   Parent Loop BB0_2003 Depth=1
                                        ; =>  This Inner Loop Header: Depth=2
	global_load_b64 v[2:3], v0, s[4:5] scope:SCOPE_SYS
	s_wait_loadcnt 0x0
	v_cmp_ne_u64_e32 vcc_lo, s[10:11], v[2:3]
	s_cbranch_vccnz .LBB0_3628
; %bb.3629:                             ;   in Loop: Header=BB0_2003 Depth=1
	s_add_co_i32 s10, s8, 0x32d
	s_mov_b32 s11, s9
	s_delay_alu instid0(SALU_CYCLE_1)
	v_mov_b64_e32 v[2:3], s[10:11]
	s_wait_xcnt 0x0
	global_store_b64 v0, v[2:3], s[6:7] scope:SCOPE_SYS
.LBB0_3630:                             ;   Parent Loop BB0_2003 Depth=1
                                        ; =>  This Inner Loop Header: Depth=2
	global_load_b64 v[2:3], v0, s[4:5] scope:SCOPE_SYS
	s_wait_loadcnt 0x0
	v_cmp_ne_u64_e32 vcc_lo, s[10:11], v[2:3]
	s_cbranch_vccnz .LBB0_3630
; %bb.3631:                             ;   in Loop: Header=BB0_2003 Depth=1
	s_add_co_i32 s10, s8, 0x32e
	s_mov_b32 s11, s9
	s_delay_alu instid0(SALU_CYCLE_1)
	v_mov_b64_e32 v[2:3], s[10:11]
	s_wait_xcnt 0x0
	global_store_b64 v0, v[2:3], s[6:7] scope:SCOPE_SYS
.LBB0_3632:                             ;   Parent Loop BB0_2003 Depth=1
                                        ; =>  This Inner Loop Header: Depth=2
	global_load_b64 v[2:3], v0, s[4:5] scope:SCOPE_SYS
	s_wait_loadcnt 0x0
	v_cmp_ne_u64_e32 vcc_lo, s[10:11], v[2:3]
	s_cbranch_vccnz .LBB0_3632
; %bb.3633:                             ;   in Loop: Header=BB0_2003 Depth=1
	s_add_co_i32 s10, s8, 0x32f
	s_mov_b32 s11, s9
	s_delay_alu instid0(SALU_CYCLE_1)
	v_mov_b64_e32 v[2:3], s[10:11]
	s_wait_xcnt 0x0
	global_store_b64 v0, v[2:3], s[6:7] scope:SCOPE_SYS
.LBB0_3634:                             ;   Parent Loop BB0_2003 Depth=1
                                        ; =>  This Inner Loop Header: Depth=2
	global_load_b64 v[2:3], v0, s[4:5] scope:SCOPE_SYS
	s_wait_loadcnt 0x0
	v_cmp_ne_u64_e32 vcc_lo, s[10:11], v[2:3]
	s_cbranch_vccnz .LBB0_3634
; %bb.3635:                             ;   in Loop: Header=BB0_2003 Depth=1
	s_add_co_i32 s10, s8, 0x330
	s_mov_b32 s11, s9
	s_delay_alu instid0(SALU_CYCLE_1)
	v_mov_b64_e32 v[2:3], s[10:11]
	s_wait_xcnt 0x0
	global_store_b64 v0, v[2:3], s[6:7] scope:SCOPE_SYS
.LBB0_3636:                             ;   Parent Loop BB0_2003 Depth=1
                                        ; =>  This Inner Loop Header: Depth=2
	global_load_b64 v[2:3], v0, s[4:5] scope:SCOPE_SYS
	s_wait_loadcnt 0x0
	v_cmp_ne_u64_e32 vcc_lo, s[10:11], v[2:3]
	s_cbranch_vccnz .LBB0_3636
; %bb.3637:                             ;   in Loop: Header=BB0_2003 Depth=1
	s_add_co_i32 s10, s8, 0x331
	s_mov_b32 s11, s9
	s_delay_alu instid0(SALU_CYCLE_1)
	v_mov_b64_e32 v[2:3], s[10:11]
	s_wait_xcnt 0x0
	global_store_b64 v0, v[2:3], s[6:7] scope:SCOPE_SYS
.LBB0_3638:                             ;   Parent Loop BB0_2003 Depth=1
                                        ; =>  This Inner Loop Header: Depth=2
	global_load_b64 v[2:3], v0, s[4:5] scope:SCOPE_SYS
	s_wait_loadcnt 0x0
	v_cmp_ne_u64_e32 vcc_lo, s[10:11], v[2:3]
	s_cbranch_vccnz .LBB0_3638
; %bb.3639:                             ;   in Loop: Header=BB0_2003 Depth=1
	s_add_co_i32 s10, s8, 0x332
	s_mov_b32 s11, s9
	s_delay_alu instid0(SALU_CYCLE_1)
	v_mov_b64_e32 v[2:3], s[10:11]
	s_wait_xcnt 0x0
	global_store_b64 v0, v[2:3], s[6:7] scope:SCOPE_SYS
.LBB0_3640:                             ;   Parent Loop BB0_2003 Depth=1
                                        ; =>  This Inner Loop Header: Depth=2
	global_load_b64 v[2:3], v0, s[4:5] scope:SCOPE_SYS
	s_wait_loadcnt 0x0
	v_cmp_ne_u64_e32 vcc_lo, s[10:11], v[2:3]
	s_cbranch_vccnz .LBB0_3640
; %bb.3641:                             ;   in Loop: Header=BB0_2003 Depth=1
	s_add_co_i32 s10, s8, 0x333
	s_mov_b32 s11, s9
	s_delay_alu instid0(SALU_CYCLE_1)
	v_mov_b64_e32 v[2:3], s[10:11]
	s_wait_xcnt 0x0
	global_store_b64 v0, v[2:3], s[6:7] scope:SCOPE_SYS
.LBB0_3642:                             ;   Parent Loop BB0_2003 Depth=1
                                        ; =>  This Inner Loop Header: Depth=2
	global_load_b64 v[2:3], v0, s[4:5] scope:SCOPE_SYS
	s_wait_loadcnt 0x0
	v_cmp_ne_u64_e32 vcc_lo, s[10:11], v[2:3]
	s_cbranch_vccnz .LBB0_3642
; %bb.3643:                             ;   in Loop: Header=BB0_2003 Depth=1
	s_add_co_i32 s10, s8, 0x334
	s_mov_b32 s11, s9
	s_delay_alu instid0(SALU_CYCLE_1)
	v_mov_b64_e32 v[2:3], s[10:11]
	s_wait_xcnt 0x0
	global_store_b64 v0, v[2:3], s[6:7] scope:SCOPE_SYS
.LBB0_3644:                             ;   Parent Loop BB0_2003 Depth=1
                                        ; =>  This Inner Loop Header: Depth=2
	global_load_b64 v[2:3], v0, s[4:5] scope:SCOPE_SYS
	s_wait_loadcnt 0x0
	v_cmp_ne_u64_e32 vcc_lo, s[10:11], v[2:3]
	s_cbranch_vccnz .LBB0_3644
; %bb.3645:                             ;   in Loop: Header=BB0_2003 Depth=1
	s_add_co_i32 s10, s8, 0x335
	s_mov_b32 s11, s9
	s_delay_alu instid0(SALU_CYCLE_1)
	v_mov_b64_e32 v[2:3], s[10:11]
	s_wait_xcnt 0x0
	global_store_b64 v0, v[2:3], s[6:7] scope:SCOPE_SYS
.LBB0_3646:                             ;   Parent Loop BB0_2003 Depth=1
                                        ; =>  This Inner Loop Header: Depth=2
	global_load_b64 v[2:3], v0, s[4:5] scope:SCOPE_SYS
	s_wait_loadcnt 0x0
	v_cmp_ne_u64_e32 vcc_lo, s[10:11], v[2:3]
	s_cbranch_vccnz .LBB0_3646
; %bb.3647:                             ;   in Loop: Header=BB0_2003 Depth=1
	s_add_co_i32 s10, s8, 0x336
	s_mov_b32 s11, s9
	s_delay_alu instid0(SALU_CYCLE_1)
	v_mov_b64_e32 v[2:3], s[10:11]
	s_wait_xcnt 0x0
	global_store_b64 v0, v[2:3], s[6:7] scope:SCOPE_SYS
.LBB0_3648:                             ;   Parent Loop BB0_2003 Depth=1
                                        ; =>  This Inner Loop Header: Depth=2
	global_load_b64 v[2:3], v0, s[4:5] scope:SCOPE_SYS
	s_wait_loadcnt 0x0
	v_cmp_ne_u64_e32 vcc_lo, s[10:11], v[2:3]
	s_cbranch_vccnz .LBB0_3648
; %bb.3649:                             ;   in Loop: Header=BB0_2003 Depth=1
	s_add_co_i32 s10, s8, 0x337
	s_mov_b32 s11, s9
	s_delay_alu instid0(SALU_CYCLE_1)
	v_mov_b64_e32 v[2:3], s[10:11]
	s_wait_xcnt 0x0
	global_store_b64 v0, v[2:3], s[6:7] scope:SCOPE_SYS
.LBB0_3650:                             ;   Parent Loop BB0_2003 Depth=1
                                        ; =>  This Inner Loop Header: Depth=2
	global_load_b64 v[2:3], v0, s[4:5] scope:SCOPE_SYS
	s_wait_loadcnt 0x0
	v_cmp_ne_u64_e32 vcc_lo, s[10:11], v[2:3]
	s_cbranch_vccnz .LBB0_3650
; %bb.3651:                             ;   in Loop: Header=BB0_2003 Depth=1
	s_add_co_i32 s10, s8, 0x338
	s_mov_b32 s11, s9
	s_delay_alu instid0(SALU_CYCLE_1)
	v_mov_b64_e32 v[2:3], s[10:11]
	s_wait_xcnt 0x0
	global_store_b64 v0, v[2:3], s[6:7] scope:SCOPE_SYS
.LBB0_3652:                             ;   Parent Loop BB0_2003 Depth=1
                                        ; =>  This Inner Loop Header: Depth=2
	global_load_b64 v[2:3], v0, s[4:5] scope:SCOPE_SYS
	s_wait_loadcnt 0x0
	v_cmp_ne_u64_e32 vcc_lo, s[10:11], v[2:3]
	s_cbranch_vccnz .LBB0_3652
; %bb.3653:                             ;   in Loop: Header=BB0_2003 Depth=1
	s_add_co_i32 s10, s8, 0x339
	s_mov_b32 s11, s9
	s_delay_alu instid0(SALU_CYCLE_1)
	v_mov_b64_e32 v[2:3], s[10:11]
	s_wait_xcnt 0x0
	global_store_b64 v0, v[2:3], s[6:7] scope:SCOPE_SYS
.LBB0_3654:                             ;   Parent Loop BB0_2003 Depth=1
                                        ; =>  This Inner Loop Header: Depth=2
	global_load_b64 v[2:3], v0, s[4:5] scope:SCOPE_SYS
	s_wait_loadcnt 0x0
	v_cmp_ne_u64_e32 vcc_lo, s[10:11], v[2:3]
	s_cbranch_vccnz .LBB0_3654
; %bb.3655:                             ;   in Loop: Header=BB0_2003 Depth=1
	s_add_co_i32 s10, s8, 0x33a
	s_mov_b32 s11, s9
	s_delay_alu instid0(SALU_CYCLE_1)
	v_mov_b64_e32 v[2:3], s[10:11]
	s_wait_xcnt 0x0
	global_store_b64 v0, v[2:3], s[6:7] scope:SCOPE_SYS
.LBB0_3656:                             ;   Parent Loop BB0_2003 Depth=1
                                        ; =>  This Inner Loop Header: Depth=2
	global_load_b64 v[2:3], v0, s[4:5] scope:SCOPE_SYS
	s_wait_loadcnt 0x0
	v_cmp_ne_u64_e32 vcc_lo, s[10:11], v[2:3]
	s_cbranch_vccnz .LBB0_3656
; %bb.3657:                             ;   in Loop: Header=BB0_2003 Depth=1
	s_add_co_i32 s10, s8, 0x33b
	s_mov_b32 s11, s9
	s_delay_alu instid0(SALU_CYCLE_1)
	v_mov_b64_e32 v[2:3], s[10:11]
	s_wait_xcnt 0x0
	global_store_b64 v0, v[2:3], s[6:7] scope:SCOPE_SYS
.LBB0_3658:                             ;   Parent Loop BB0_2003 Depth=1
                                        ; =>  This Inner Loop Header: Depth=2
	global_load_b64 v[2:3], v0, s[4:5] scope:SCOPE_SYS
	s_wait_loadcnt 0x0
	v_cmp_ne_u64_e32 vcc_lo, s[10:11], v[2:3]
	s_cbranch_vccnz .LBB0_3658
; %bb.3659:                             ;   in Loop: Header=BB0_2003 Depth=1
	s_add_co_i32 s10, s8, 0x33c
	s_mov_b32 s11, s9
	s_delay_alu instid0(SALU_CYCLE_1)
	v_mov_b64_e32 v[2:3], s[10:11]
	s_wait_xcnt 0x0
	global_store_b64 v0, v[2:3], s[6:7] scope:SCOPE_SYS
.LBB0_3660:                             ;   Parent Loop BB0_2003 Depth=1
                                        ; =>  This Inner Loop Header: Depth=2
	global_load_b64 v[2:3], v0, s[4:5] scope:SCOPE_SYS
	s_wait_loadcnt 0x0
	v_cmp_ne_u64_e32 vcc_lo, s[10:11], v[2:3]
	s_cbranch_vccnz .LBB0_3660
; %bb.3661:                             ;   in Loop: Header=BB0_2003 Depth=1
	s_add_co_i32 s10, s8, 0x33d
	s_mov_b32 s11, s9
	s_delay_alu instid0(SALU_CYCLE_1)
	v_mov_b64_e32 v[2:3], s[10:11]
	s_wait_xcnt 0x0
	global_store_b64 v0, v[2:3], s[6:7] scope:SCOPE_SYS
.LBB0_3662:                             ;   Parent Loop BB0_2003 Depth=1
                                        ; =>  This Inner Loop Header: Depth=2
	global_load_b64 v[2:3], v0, s[4:5] scope:SCOPE_SYS
	s_wait_loadcnt 0x0
	v_cmp_ne_u64_e32 vcc_lo, s[10:11], v[2:3]
	s_cbranch_vccnz .LBB0_3662
; %bb.3663:                             ;   in Loop: Header=BB0_2003 Depth=1
	s_add_co_i32 s10, s8, 0x33e
	s_mov_b32 s11, s9
	s_delay_alu instid0(SALU_CYCLE_1)
	v_mov_b64_e32 v[2:3], s[10:11]
	s_wait_xcnt 0x0
	global_store_b64 v0, v[2:3], s[6:7] scope:SCOPE_SYS
.LBB0_3664:                             ;   Parent Loop BB0_2003 Depth=1
                                        ; =>  This Inner Loop Header: Depth=2
	global_load_b64 v[2:3], v0, s[4:5] scope:SCOPE_SYS
	s_wait_loadcnt 0x0
	v_cmp_ne_u64_e32 vcc_lo, s[10:11], v[2:3]
	s_cbranch_vccnz .LBB0_3664
; %bb.3665:                             ;   in Loop: Header=BB0_2003 Depth=1
	s_add_co_i32 s10, s8, 0x33f
	s_mov_b32 s11, s9
	s_delay_alu instid0(SALU_CYCLE_1)
	v_mov_b64_e32 v[2:3], s[10:11]
	s_wait_xcnt 0x0
	global_store_b64 v0, v[2:3], s[6:7] scope:SCOPE_SYS
.LBB0_3666:                             ;   Parent Loop BB0_2003 Depth=1
                                        ; =>  This Inner Loop Header: Depth=2
	global_load_b64 v[2:3], v0, s[4:5] scope:SCOPE_SYS
	s_wait_loadcnt 0x0
	v_cmp_ne_u64_e32 vcc_lo, s[10:11], v[2:3]
	s_cbranch_vccnz .LBB0_3666
; %bb.3667:                             ;   in Loop: Header=BB0_2003 Depth=1
	s_add_co_i32 s10, s8, 0x340
	s_mov_b32 s11, s9
	s_delay_alu instid0(SALU_CYCLE_1)
	v_mov_b64_e32 v[2:3], s[10:11]
	s_wait_xcnt 0x0
	global_store_b64 v0, v[2:3], s[6:7] scope:SCOPE_SYS
.LBB0_3668:                             ;   Parent Loop BB0_2003 Depth=1
                                        ; =>  This Inner Loop Header: Depth=2
	global_load_b64 v[2:3], v0, s[4:5] scope:SCOPE_SYS
	s_wait_loadcnt 0x0
	v_cmp_ne_u64_e32 vcc_lo, s[10:11], v[2:3]
	s_cbranch_vccnz .LBB0_3668
; %bb.3669:                             ;   in Loop: Header=BB0_2003 Depth=1
	s_add_co_i32 s10, s8, 0x341
	s_mov_b32 s11, s9
	s_delay_alu instid0(SALU_CYCLE_1)
	v_mov_b64_e32 v[2:3], s[10:11]
	s_wait_xcnt 0x0
	global_store_b64 v0, v[2:3], s[6:7] scope:SCOPE_SYS
.LBB0_3670:                             ;   Parent Loop BB0_2003 Depth=1
                                        ; =>  This Inner Loop Header: Depth=2
	global_load_b64 v[2:3], v0, s[4:5] scope:SCOPE_SYS
	s_wait_loadcnt 0x0
	v_cmp_ne_u64_e32 vcc_lo, s[10:11], v[2:3]
	s_cbranch_vccnz .LBB0_3670
; %bb.3671:                             ;   in Loop: Header=BB0_2003 Depth=1
	s_add_co_i32 s10, s8, 0x342
	s_mov_b32 s11, s9
	s_delay_alu instid0(SALU_CYCLE_1)
	v_mov_b64_e32 v[2:3], s[10:11]
	s_wait_xcnt 0x0
	global_store_b64 v0, v[2:3], s[6:7] scope:SCOPE_SYS
.LBB0_3672:                             ;   Parent Loop BB0_2003 Depth=1
                                        ; =>  This Inner Loop Header: Depth=2
	global_load_b64 v[2:3], v0, s[4:5] scope:SCOPE_SYS
	s_wait_loadcnt 0x0
	v_cmp_ne_u64_e32 vcc_lo, s[10:11], v[2:3]
	s_cbranch_vccnz .LBB0_3672
; %bb.3673:                             ;   in Loop: Header=BB0_2003 Depth=1
	s_add_co_i32 s10, s8, 0x343
	s_mov_b32 s11, s9
	s_delay_alu instid0(SALU_CYCLE_1)
	v_mov_b64_e32 v[2:3], s[10:11]
	s_wait_xcnt 0x0
	global_store_b64 v0, v[2:3], s[6:7] scope:SCOPE_SYS
.LBB0_3674:                             ;   Parent Loop BB0_2003 Depth=1
                                        ; =>  This Inner Loop Header: Depth=2
	global_load_b64 v[2:3], v0, s[4:5] scope:SCOPE_SYS
	s_wait_loadcnt 0x0
	v_cmp_ne_u64_e32 vcc_lo, s[10:11], v[2:3]
	s_cbranch_vccnz .LBB0_3674
; %bb.3675:                             ;   in Loop: Header=BB0_2003 Depth=1
	s_add_co_i32 s10, s8, 0x344
	s_mov_b32 s11, s9
	s_delay_alu instid0(SALU_CYCLE_1)
	v_mov_b64_e32 v[2:3], s[10:11]
	s_wait_xcnt 0x0
	global_store_b64 v0, v[2:3], s[6:7] scope:SCOPE_SYS
.LBB0_3676:                             ;   Parent Loop BB0_2003 Depth=1
                                        ; =>  This Inner Loop Header: Depth=2
	global_load_b64 v[2:3], v0, s[4:5] scope:SCOPE_SYS
	s_wait_loadcnt 0x0
	v_cmp_ne_u64_e32 vcc_lo, s[10:11], v[2:3]
	s_cbranch_vccnz .LBB0_3676
; %bb.3677:                             ;   in Loop: Header=BB0_2003 Depth=1
	s_add_co_i32 s10, s8, 0x345
	s_mov_b32 s11, s9
	s_delay_alu instid0(SALU_CYCLE_1)
	v_mov_b64_e32 v[2:3], s[10:11]
	s_wait_xcnt 0x0
	global_store_b64 v0, v[2:3], s[6:7] scope:SCOPE_SYS
.LBB0_3678:                             ;   Parent Loop BB0_2003 Depth=1
                                        ; =>  This Inner Loop Header: Depth=2
	global_load_b64 v[2:3], v0, s[4:5] scope:SCOPE_SYS
	s_wait_loadcnt 0x0
	v_cmp_ne_u64_e32 vcc_lo, s[10:11], v[2:3]
	s_cbranch_vccnz .LBB0_3678
; %bb.3679:                             ;   in Loop: Header=BB0_2003 Depth=1
	s_add_co_i32 s10, s8, 0x346
	s_mov_b32 s11, s9
	s_delay_alu instid0(SALU_CYCLE_1)
	v_mov_b64_e32 v[2:3], s[10:11]
	s_wait_xcnt 0x0
	global_store_b64 v0, v[2:3], s[6:7] scope:SCOPE_SYS
.LBB0_3680:                             ;   Parent Loop BB0_2003 Depth=1
                                        ; =>  This Inner Loop Header: Depth=2
	global_load_b64 v[2:3], v0, s[4:5] scope:SCOPE_SYS
	s_wait_loadcnt 0x0
	v_cmp_ne_u64_e32 vcc_lo, s[10:11], v[2:3]
	s_cbranch_vccnz .LBB0_3680
; %bb.3681:                             ;   in Loop: Header=BB0_2003 Depth=1
	s_add_co_i32 s10, s8, 0x347
	s_mov_b32 s11, s9
	s_delay_alu instid0(SALU_CYCLE_1)
	v_mov_b64_e32 v[2:3], s[10:11]
	s_wait_xcnt 0x0
	global_store_b64 v0, v[2:3], s[6:7] scope:SCOPE_SYS
.LBB0_3682:                             ;   Parent Loop BB0_2003 Depth=1
                                        ; =>  This Inner Loop Header: Depth=2
	global_load_b64 v[2:3], v0, s[4:5] scope:SCOPE_SYS
	s_wait_loadcnt 0x0
	v_cmp_ne_u64_e32 vcc_lo, s[10:11], v[2:3]
	s_cbranch_vccnz .LBB0_3682
; %bb.3683:                             ;   in Loop: Header=BB0_2003 Depth=1
	s_add_co_i32 s10, s8, 0x348
	s_mov_b32 s11, s9
	s_delay_alu instid0(SALU_CYCLE_1)
	v_mov_b64_e32 v[2:3], s[10:11]
	s_wait_xcnt 0x0
	global_store_b64 v0, v[2:3], s[6:7] scope:SCOPE_SYS
.LBB0_3684:                             ;   Parent Loop BB0_2003 Depth=1
                                        ; =>  This Inner Loop Header: Depth=2
	global_load_b64 v[2:3], v0, s[4:5] scope:SCOPE_SYS
	s_wait_loadcnt 0x0
	v_cmp_ne_u64_e32 vcc_lo, s[10:11], v[2:3]
	s_cbranch_vccnz .LBB0_3684
; %bb.3685:                             ;   in Loop: Header=BB0_2003 Depth=1
	s_add_co_i32 s10, s8, 0x349
	s_mov_b32 s11, s9
	s_delay_alu instid0(SALU_CYCLE_1)
	v_mov_b64_e32 v[2:3], s[10:11]
	s_wait_xcnt 0x0
	global_store_b64 v0, v[2:3], s[6:7] scope:SCOPE_SYS
.LBB0_3686:                             ;   Parent Loop BB0_2003 Depth=1
                                        ; =>  This Inner Loop Header: Depth=2
	global_load_b64 v[2:3], v0, s[4:5] scope:SCOPE_SYS
	s_wait_loadcnt 0x0
	v_cmp_ne_u64_e32 vcc_lo, s[10:11], v[2:3]
	s_cbranch_vccnz .LBB0_3686
; %bb.3687:                             ;   in Loop: Header=BB0_2003 Depth=1
	s_add_co_i32 s10, s8, 0x34a
	s_mov_b32 s11, s9
	s_delay_alu instid0(SALU_CYCLE_1)
	v_mov_b64_e32 v[2:3], s[10:11]
	s_wait_xcnt 0x0
	global_store_b64 v0, v[2:3], s[6:7] scope:SCOPE_SYS
.LBB0_3688:                             ;   Parent Loop BB0_2003 Depth=1
                                        ; =>  This Inner Loop Header: Depth=2
	global_load_b64 v[2:3], v0, s[4:5] scope:SCOPE_SYS
	s_wait_loadcnt 0x0
	v_cmp_ne_u64_e32 vcc_lo, s[10:11], v[2:3]
	s_cbranch_vccnz .LBB0_3688
; %bb.3689:                             ;   in Loop: Header=BB0_2003 Depth=1
	s_add_co_i32 s10, s8, 0x34b
	s_mov_b32 s11, s9
	s_delay_alu instid0(SALU_CYCLE_1)
	v_mov_b64_e32 v[2:3], s[10:11]
	s_wait_xcnt 0x0
	global_store_b64 v0, v[2:3], s[6:7] scope:SCOPE_SYS
.LBB0_3690:                             ;   Parent Loop BB0_2003 Depth=1
                                        ; =>  This Inner Loop Header: Depth=2
	global_load_b64 v[2:3], v0, s[4:5] scope:SCOPE_SYS
	s_wait_loadcnt 0x0
	v_cmp_ne_u64_e32 vcc_lo, s[10:11], v[2:3]
	s_cbranch_vccnz .LBB0_3690
; %bb.3691:                             ;   in Loop: Header=BB0_2003 Depth=1
	s_add_co_i32 s10, s8, 0x34c
	s_mov_b32 s11, s9
	s_delay_alu instid0(SALU_CYCLE_1)
	v_mov_b64_e32 v[2:3], s[10:11]
	s_wait_xcnt 0x0
	global_store_b64 v0, v[2:3], s[6:7] scope:SCOPE_SYS
.LBB0_3692:                             ;   Parent Loop BB0_2003 Depth=1
                                        ; =>  This Inner Loop Header: Depth=2
	global_load_b64 v[2:3], v0, s[4:5] scope:SCOPE_SYS
	s_wait_loadcnt 0x0
	v_cmp_ne_u64_e32 vcc_lo, s[10:11], v[2:3]
	s_cbranch_vccnz .LBB0_3692
; %bb.3693:                             ;   in Loop: Header=BB0_2003 Depth=1
	s_add_co_i32 s10, s8, 0x34d
	s_mov_b32 s11, s9
	s_delay_alu instid0(SALU_CYCLE_1)
	v_mov_b64_e32 v[2:3], s[10:11]
	s_wait_xcnt 0x0
	global_store_b64 v0, v[2:3], s[6:7] scope:SCOPE_SYS
.LBB0_3694:                             ;   Parent Loop BB0_2003 Depth=1
                                        ; =>  This Inner Loop Header: Depth=2
	global_load_b64 v[2:3], v0, s[4:5] scope:SCOPE_SYS
	s_wait_loadcnt 0x0
	v_cmp_ne_u64_e32 vcc_lo, s[10:11], v[2:3]
	s_cbranch_vccnz .LBB0_3694
; %bb.3695:                             ;   in Loop: Header=BB0_2003 Depth=1
	s_add_co_i32 s10, s8, 0x34e
	s_mov_b32 s11, s9
	s_delay_alu instid0(SALU_CYCLE_1)
	v_mov_b64_e32 v[2:3], s[10:11]
	s_wait_xcnt 0x0
	global_store_b64 v0, v[2:3], s[6:7] scope:SCOPE_SYS
.LBB0_3696:                             ;   Parent Loop BB0_2003 Depth=1
                                        ; =>  This Inner Loop Header: Depth=2
	global_load_b64 v[2:3], v0, s[4:5] scope:SCOPE_SYS
	s_wait_loadcnt 0x0
	v_cmp_ne_u64_e32 vcc_lo, s[10:11], v[2:3]
	s_cbranch_vccnz .LBB0_3696
; %bb.3697:                             ;   in Loop: Header=BB0_2003 Depth=1
	s_add_co_i32 s10, s8, 0x34f
	s_mov_b32 s11, s9
	s_delay_alu instid0(SALU_CYCLE_1)
	v_mov_b64_e32 v[2:3], s[10:11]
	s_wait_xcnt 0x0
	global_store_b64 v0, v[2:3], s[6:7] scope:SCOPE_SYS
.LBB0_3698:                             ;   Parent Loop BB0_2003 Depth=1
                                        ; =>  This Inner Loop Header: Depth=2
	global_load_b64 v[2:3], v0, s[4:5] scope:SCOPE_SYS
	s_wait_loadcnt 0x0
	v_cmp_ne_u64_e32 vcc_lo, s[10:11], v[2:3]
	s_cbranch_vccnz .LBB0_3698
; %bb.3699:                             ;   in Loop: Header=BB0_2003 Depth=1
	s_add_co_i32 s10, s8, 0x350
	s_mov_b32 s11, s9
	s_delay_alu instid0(SALU_CYCLE_1)
	v_mov_b64_e32 v[2:3], s[10:11]
	s_wait_xcnt 0x0
	global_store_b64 v0, v[2:3], s[6:7] scope:SCOPE_SYS
.LBB0_3700:                             ;   Parent Loop BB0_2003 Depth=1
                                        ; =>  This Inner Loop Header: Depth=2
	global_load_b64 v[2:3], v0, s[4:5] scope:SCOPE_SYS
	s_wait_loadcnt 0x0
	v_cmp_ne_u64_e32 vcc_lo, s[10:11], v[2:3]
	s_cbranch_vccnz .LBB0_3700
; %bb.3701:                             ;   in Loop: Header=BB0_2003 Depth=1
	s_add_co_i32 s10, s8, 0x351
	s_mov_b32 s11, s9
	s_delay_alu instid0(SALU_CYCLE_1)
	v_mov_b64_e32 v[2:3], s[10:11]
	s_wait_xcnt 0x0
	global_store_b64 v0, v[2:3], s[6:7] scope:SCOPE_SYS
.LBB0_3702:                             ;   Parent Loop BB0_2003 Depth=1
                                        ; =>  This Inner Loop Header: Depth=2
	global_load_b64 v[2:3], v0, s[4:5] scope:SCOPE_SYS
	s_wait_loadcnt 0x0
	v_cmp_ne_u64_e32 vcc_lo, s[10:11], v[2:3]
	s_cbranch_vccnz .LBB0_3702
; %bb.3703:                             ;   in Loop: Header=BB0_2003 Depth=1
	s_add_co_i32 s10, s8, 0x352
	s_mov_b32 s11, s9
	s_delay_alu instid0(SALU_CYCLE_1)
	v_mov_b64_e32 v[2:3], s[10:11]
	s_wait_xcnt 0x0
	global_store_b64 v0, v[2:3], s[6:7] scope:SCOPE_SYS
.LBB0_3704:                             ;   Parent Loop BB0_2003 Depth=1
                                        ; =>  This Inner Loop Header: Depth=2
	global_load_b64 v[2:3], v0, s[4:5] scope:SCOPE_SYS
	s_wait_loadcnt 0x0
	v_cmp_ne_u64_e32 vcc_lo, s[10:11], v[2:3]
	s_cbranch_vccnz .LBB0_3704
; %bb.3705:                             ;   in Loop: Header=BB0_2003 Depth=1
	s_add_co_i32 s10, s8, 0x353
	s_mov_b32 s11, s9
	s_delay_alu instid0(SALU_CYCLE_1)
	v_mov_b64_e32 v[2:3], s[10:11]
	s_wait_xcnt 0x0
	global_store_b64 v0, v[2:3], s[6:7] scope:SCOPE_SYS
.LBB0_3706:                             ;   Parent Loop BB0_2003 Depth=1
                                        ; =>  This Inner Loop Header: Depth=2
	global_load_b64 v[2:3], v0, s[4:5] scope:SCOPE_SYS
	s_wait_loadcnt 0x0
	v_cmp_ne_u64_e32 vcc_lo, s[10:11], v[2:3]
	s_cbranch_vccnz .LBB0_3706
; %bb.3707:                             ;   in Loop: Header=BB0_2003 Depth=1
	s_add_co_i32 s10, s8, 0x354
	s_mov_b32 s11, s9
	s_delay_alu instid0(SALU_CYCLE_1)
	v_mov_b64_e32 v[2:3], s[10:11]
	s_wait_xcnt 0x0
	global_store_b64 v0, v[2:3], s[6:7] scope:SCOPE_SYS
.LBB0_3708:                             ;   Parent Loop BB0_2003 Depth=1
                                        ; =>  This Inner Loop Header: Depth=2
	global_load_b64 v[2:3], v0, s[4:5] scope:SCOPE_SYS
	s_wait_loadcnt 0x0
	v_cmp_ne_u64_e32 vcc_lo, s[10:11], v[2:3]
	s_cbranch_vccnz .LBB0_3708
; %bb.3709:                             ;   in Loop: Header=BB0_2003 Depth=1
	s_add_co_i32 s10, s8, 0x355
	s_mov_b32 s11, s9
	s_delay_alu instid0(SALU_CYCLE_1)
	v_mov_b64_e32 v[2:3], s[10:11]
	s_wait_xcnt 0x0
	global_store_b64 v0, v[2:3], s[6:7] scope:SCOPE_SYS
.LBB0_3710:                             ;   Parent Loop BB0_2003 Depth=1
                                        ; =>  This Inner Loop Header: Depth=2
	global_load_b64 v[2:3], v0, s[4:5] scope:SCOPE_SYS
	s_wait_loadcnt 0x0
	v_cmp_ne_u64_e32 vcc_lo, s[10:11], v[2:3]
	s_cbranch_vccnz .LBB0_3710
; %bb.3711:                             ;   in Loop: Header=BB0_2003 Depth=1
	s_add_co_i32 s10, s8, 0x356
	s_mov_b32 s11, s9
	s_delay_alu instid0(SALU_CYCLE_1)
	v_mov_b64_e32 v[2:3], s[10:11]
	s_wait_xcnt 0x0
	global_store_b64 v0, v[2:3], s[6:7] scope:SCOPE_SYS
.LBB0_3712:                             ;   Parent Loop BB0_2003 Depth=1
                                        ; =>  This Inner Loop Header: Depth=2
	global_load_b64 v[2:3], v0, s[4:5] scope:SCOPE_SYS
	s_wait_loadcnt 0x0
	v_cmp_ne_u64_e32 vcc_lo, s[10:11], v[2:3]
	s_cbranch_vccnz .LBB0_3712
; %bb.3713:                             ;   in Loop: Header=BB0_2003 Depth=1
	s_add_co_i32 s10, s8, 0x357
	s_mov_b32 s11, s9
	s_delay_alu instid0(SALU_CYCLE_1)
	v_mov_b64_e32 v[2:3], s[10:11]
	s_wait_xcnt 0x0
	global_store_b64 v0, v[2:3], s[6:7] scope:SCOPE_SYS
.LBB0_3714:                             ;   Parent Loop BB0_2003 Depth=1
                                        ; =>  This Inner Loop Header: Depth=2
	global_load_b64 v[2:3], v0, s[4:5] scope:SCOPE_SYS
	s_wait_loadcnt 0x0
	v_cmp_ne_u64_e32 vcc_lo, s[10:11], v[2:3]
	s_cbranch_vccnz .LBB0_3714
; %bb.3715:                             ;   in Loop: Header=BB0_2003 Depth=1
	s_add_co_i32 s10, s8, 0x358
	s_mov_b32 s11, s9
	s_delay_alu instid0(SALU_CYCLE_1)
	v_mov_b64_e32 v[2:3], s[10:11]
	s_wait_xcnt 0x0
	global_store_b64 v0, v[2:3], s[6:7] scope:SCOPE_SYS
.LBB0_3716:                             ;   Parent Loop BB0_2003 Depth=1
                                        ; =>  This Inner Loop Header: Depth=2
	global_load_b64 v[2:3], v0, s[4:5] scope:SCOPE_SYS
	s_wait_loadcnt 0x0
	v_cmp_ne_u64_e32 vcc_lo, s[10:11], v[2:3]
	s_cbranch_vccnz .LBB0_3716
; %bb.3717:                             ;   in Loop: Header=BB0_2003 Depth=1
	s_add_co_i32 s10, s8, 0x359
	s_mov_b32 s11, s9
	s_delay_alu instid0(SALU_CYCLE_1)
	v_mov_b64_e32 v[2:3], s[10:11]
	s_wait_xcnt 0x0
	global_store_b64 v0, v[2:3], s[6:7] scope:SCOPE_SYS
.LBB0_3718:                             ;   Parent Loop BB0_2003 Depth=1
                                        ; =>  This Inner Loop Header: Depth=2
	global_load_b64 v[2:3], v0, s[4:5] scope:SCOPE_SYS
	s_wait_loadcnt 0x0
	v_cmp_ne_u64_e32 vcc_lo, s[10:11], v[2:3]
	s_cbranch_vccnz .LBB0_3718
; %bb.3719:                             ;   in Loop: Header=BB0_2003 Depth=1
	s_add_co_i32 s10, s8, 0x35a
	s_mov_b32 s11, s9
	s_delay_alu instid0(SALU_CYCLE_1)
	v_mov_b64_e32 v[2:3], s[10:11]
	s_wait_xcnt 0x0
	global_store_b64 v0, v[2:3], s[6:7] scope:SCOPE_SYS
.LBB0_3720:                             ;   Parent Loop BB0_2003 Depth=1
                                        ; =>  This Inner Loop Header: Depth=2
	global_load_b64 v[2:3], v0, s[4:5] scope:SCOPE_SYS
	s_wait_loadcnt 0x0
	v_cmp_ne_u64_e32 vcc_lo, s[10:11], v[2:3]
	s_cbranch_vccnz .LBB0_3720
; %bb.3721:                             ;   in Loop: Header=BB0_2003 Depth=1
	s_add_co_i32 s10, s8, 0x35b
	s_mov_b32 s11, s9
	s_delay_alu instid0(SALU_CYCLE_1)
	v_mov_b64_e32 v[2:3], s[10:11]
	s_wait_xcnt 0x0
	global_store_b64 v0, v[2:3], s[6:7] scope:SCOPE_SYS
.LBB0_3722:                             ;   Parent Loop BB0_2003 Depth=1
                                        ; =>  This Inner Loop Header: Depth=2
	global_load_b64 v[2:3], v0, s[4:5] scope:SCOPE_SYS
	s_wait_loadcnt 0x0
	v_cmp_ne_u64_e32 vcc_lo, s[10:11], v[2:3]
	s_cbranch_vccnz .LBB0_3722
; %bb.3723:                             ;   in Loop: Header=BB0_2003 Depth=1
	s_add_co_i32 s10, s8, 0x35c
	s_mov_b32 s11, s9
	s_delay_alu instid0(SALU_CYCLE_1)
	v_mov_b64_e32 v[2:3], s[10:11]
	s_wait_xcnt 0x0
	global_store_b64 v0, v[2:3], s[6:7] scope:SCOPE_SYS
.LBB0_3724:                             ;   Parent Loop BB0_2003 Depth=1
                                        ; =>  This Inner Loop Header: Depth=2
	global_load_b64 v[2:3], v0, s[4:5] scope:SCOPE_SYS
	s_wait_loadcnt 0x0
	v_cmp_ne_u64_e32 vcc_lo, s[10:11], v[2:3]
	s_cbranch_vccnz .LBB0_3724
; %bb.3725:                             ;   in Loop: Header=BB0_2003 Depth=1
	s_add_co_i32 s10, s8, 0x35d
	s_mov_b32 s11, s9
	s_delay_alu instid0(SALU_CYCLE_1)
	v_mov_b64_e32 v[2:3], s[10:11]
	s_wait_xcnt 0x0
	global_store_b64 v0, v[2:3], s[6:7] scope:SCOPE_SYS
.LBB0_3726:                             ;   Parent Loop BB0_2003 Depth=1
                                        ; =>  This Inner Loop Header: Depth=2
	global_load_b64 v[2:3], v0, s[4:5] scope:SCOPE_SYS
	s_wait_loadcnt 0x0
	v_cmp_ne_u64_e32 vcc_lo, s[10:11], v[2:3]
	s_cbranch_vccnz .LBB0_3726
; %bb.3727:                             ;   in Loop: Header=BB0_2003 Depth=1
	s_add_co_i32 s10, s8, 0x35e
	s_mov_b32 s11, s9
	s_delay_alu instid0(SALU_CYCLE_1)
	v_mov_b64_e32 v[2:3], s[10:11]
	s_wait_xcnt 0x0
	global_store_b64 v0, v[2:3], s[6:7] scope:SCOPE_SYS
.LBB0_3728:                             ;   Parent Loop BB0_2003 Depth=1
                                        ; =>  This Inner Loop Header: Depth=2
	global_load_b64 v[2:3], v0, s[4:5] scope:SCOPE_SYS
	s_wait_loadcnt 0x0
	v_cmp_ne_u64_e32 vcc_lo, s[10:11], v[2:3]
	s_cbranch_vccnz .LBB0_3728
; %bb.3729:                             ;   in Loop: Header=BB0_2003 Depth=1
	s_add_co_i32 s10, s8, 0x35f
	s_mov_b32 s11, s9
	s_delay_alu instid0(SALU_CYCLE_1)
	v_mov_b64_e32 v[2:3], s[10:11]
	s_wait_xcnt 0x0
	global_store_b64 v0, v[2:3], s[6:7] scope:SCOPE_SYS
.LBB0_3730:                             ;   Parent Loop BB0_2003 Depth=1
                                        ; =>  This Inner Loop Header: Depth=2
	global_load_b64 v[2:3], v0, s[4:5] scope:SCOPE_SYS
	s_wait_loadcnt 0x0
	v_cmp_ne_u64_e32 vcc_lo, s[10:11], v[2:3]
	s_cbranch_vccnz .LBB0_3730
; %bb.3731:                             ;   in Loop: Header=BB0_2003 Depth=1
	s_add_co_i32 s10, s8, 0x360
	s_mov_b32 s11, s9
	s_delay_alu instid0(SALU_CYCLE_1)
	v_mov_b64_e32 v[2:3], s[10:11]
	s_wait_xcnt 0x0
	global_store_b64 v0, v[2:3], s[6:7] scope:SCOPE_SYS
.LBB0_3732:                             ;   Parent Loop BB0_2003 Depth=1
                                        ; =>  This Inner Loop Header: Depth=2
	global_load_b64 v[2:3], v0, s[4:5] scope:SCOPE_SYS
	s_wait_loadcnt 0x0
	v_cmp_ne_u64_e32 vcc_lo, s[10:11], v[2:3]
	s_cbranch_vccnz .LBB0_3732
; %bb.3733:                             ;   in Loop: Header=BB0_2003 Depth=1
	s_add_co_i32 s10, s8, 0x361
	s_mov_b32 s11, s9
	s_delay_alu instid0(SALU_CYCLE_1)
	v_mov_b64_e32 v[2:3], s[10:11]
	s_wait_xcnt 0x0
	global_store_b64 v0, v[2:3], s[6:7] scope:SCOPE_SYS
.LBB0_3734:                             ;   Parent Loop BB0_2003 Depth=1
                                        ; =>  This Inner Loop Header: Depth=2
	global_load_b64 v[2:3], v0, s[4:5] scope:SCOPE_SYS
	s_wait_loadcnt 0x0
	v_cmp_ne_u64_e32 vcc_lo, s[10:11], v[2:3]
	s_cbranch_vccnz .LBB0_3734
; %bb.3735:                             ;   in Loop: Header=BB0_2003 Depth=1
	s_add_co_i32 s10, s8, 0x362
	s_mov_b32 s11, s9
	s_delay_alu instid0(SALU_CYCLE_1)
	v_mov_b64_e32 v[2:3], s[10:11]
	s_wait_xcnt 0x0
	global_store_b64 v0, v[2:3], s[6:7] scope:SCOPE_SYS
.LBB0_3736:                             ;   Parent Loop BB0_2003 Depth=1
                                        ; =>  This Inner Loop Header: Depth=2
	global_load_b64 v[2:3], v0, s[4:5] scope:SCOPE_SYS
	s_wait_loadcnt 0x0
	v_cmp_ne_u64_e32 vcc_lo, s[10:11], v[2:3]
	s_cbranch_vccnz .LBB0_3736
; %bb.3737:                             ;   in Loop: Header=BB0_2003 Depth=1
	s_add_co_i32 s10, s8, 0x363
	s_mov_b32 s11, s9
	s_delay_alu instid0(SALU_CYCLE_1)
	v_mov_b64_e32 v[2:3], s[10:11]
	s_wait_xcnt 0x0
	global_store_b64 v0, v[2:3], s[6:7] scope:SCOPE_SYS
.LBB0_3738:                             ;   Parent Loop BB0_2003 Depth=1
                                        ; =>  This Inner Loop Header: Depth=2
	global_load_b64 v[2:3], v0, s[4:5] scope:SCOPE_SYS
	s_wait_loadcnt 0x0
	v_cmp_ne_u64_e32 vcc_lo, s[10:11], v[2:3]
	s_cbranch_vccnz .LBB0_3738
; %bb.3739:                             ;   in Loop: Header=BB0_2003 Depth=1
	s_add_co_i32 s10, s8, 0x364
	s_mov_b32 s11, s9
	s_delay_alu instid0(SALU_CYCLE_1)
	v_mov_b64_e32 v[2:3], s[10:11]
	s_wait_xcnt 0x0
	global_store_b64 v0, v[2:3], s[6:7] scope:SCOPE_SYS
.LBB0_3740:                             ;   Parent Loop BB0_2003 Depth=1
                                        ; =>  This Inner Loop Header: Depth=2
	global_load_b64 v[2:3], v0, s[4:5] scope:SCOPE_SYS
	s_wait_loadcnt 0x0
	v_cmp_ne_u64_e32 vcc_lo, s[10:11], v[2:3]
	s_cbranch_vccnz .LBB0_3740
; %bb.3741:                             ;   in Loop: Header=BB0_2003 Depth=1
	s_add_co_i32 s10, s8, 0x365
	s_mov_b32 s11, s9
	s_delay_alu instid0(SALU_CYCLE_1)
	v_mov_b64_e32 v[2:3], s[10:11]
	s_wait_xcnt 0x0
	global_store_b64 v0, v[2:3], s[6:7] scope:SCOPE_SYS
.LBB0_3742:                             ;   Parent Loop BB0_2003 Depth=1
                                        ; =>  This Inner Loop Header: Depth=2
	global_load_b64 v[2:3], v0, s[4:5] scope:SCOPE_SYS
	s_wait_loadcnt 0x0
	v_cmp_ne_u64_e32 vcc_lo, s[10:11], v[2:3]
	s_cbranch_vccnz .LBB0_3742
; %bb.3743:                             ;   in Loop: Header=BB0_2003 Depth=1
	s_add_co_i32 s10, s8, 0x366
	s_mov_b32 s11, s9
	s_delay_alu instid0(SALU_CYCLE_1)
	v_mov_b64_e32 v[2:3], s[10:11]
	s_wait_xcnt 0x0
	global_store_b64 v0, v[2:3], s[6:7] scope:SCOPE_SYS
.LBB0_3744:                             ;   Parent Loop BB0_2003 Depth=1
                                        ; =>  This Inner Loop Header: Depth=2
	global_load_b64 v[2:3], v0, s[4:5] scope:SCOPE_SYS
	s_wait_loadcnt 0x0
	v_cmp_ne_u64_e32 vcc_lo, s[10:11], v[2:3]
	s_cbranch_vccnz .LBB0_3744
; %bb.3745:                             ;   in Loop: Header=BB0_2003 Depth=1
	s_add_co_i32 s10, s8, 0x367
	s_mov_b32 s11, s9
	s_delay_alu instid0(SALU_CYCLE_1)
	v_mov_b64_e32 v[2:3], s[10:11]
	s_wait_xcnt 0x0
	global_store_b64 v0, v[2:3], s[6:7] scope:SCOPE_SYS
.LBB0_3746:                             ;   Parent Loop BB0_2003 Depth=1
                                        ; =>  This Inner Loop Header: Depth=2
	global_load_b64 v[2:3], v0, s[4:5] scope:SCOPE_SYS
	s_wait_loadcnt 0x0
	v_cmp_ne_u64_e32 vcc_lo, s[10:11], v[2:3]
	s_cbranch_vccnz .LBB0_3746
; %bb.3747:                             ;   in Loop: Header=BB0_2003 Depth=1
	s_add_co_i32 s10, s8, 0x368
	s_mov_b32 s11, s9
	s_delay_alu instid0(SALU_CYCLE_1)
	v_mov_b64_e32 v[2:3], s[10:11]
	s_wait_xcnt 0x0
	global_store_b64 v0, v[2:3], s[6:7] scope:SCOPE_SYS
.LBB0_3748:                             ;   Parent Loop BB0_2003 Depth=1
                                        ; =>  This Inner Loop Header: Depth=2
	global_load_b64 v[2:3], v0, s[4:5] scope:SCOPE_SYS
	s_wait_loadcnt 0x0
	v_cmp_ne_u64_e32 vcc_lo, s[10:11], v[2:3]
	s_cbranch_vccnz .LBB0_3748
; %bb.3749:                             ;   in Loop: Header=BB0_2003 Depth=1
	s_add_co_i32 s10, s8, 0x369
	s_mov_b32 s11, s9
	s_delay_alu instid0(SALU_CYCLE_1)
	v_mov_b64_e32 v[2:3], s[10:11]
	s_wait_xcnt 0x0
	global_store_b64 v0, v[2:3], s[6:7] scope:SCOPE_SYS
.LBB0_3750:                             ;   Parent Loop BB0_2003 Depth=1
                                        ; =>  This Inner Loop Header: Depth=2
	global_load_b64 v[2:3], v0, s[4:5] scope:SCOPE_SYS
	s_wait_loadcnt 0x0
	v_cmp_ne_u64_e32 vcc_lo, s[10:11], v[2:3]
	s_cbranch_vccnz .LBB0_3750
; %bb.3751:                             ;   in Loop: Header=BB0_2003 Depth=1
	s_add_co_i32 s10, s8, 0x36a
	s_mov_b32 s11, s9
	s_delay_alu instid0(SALU_CYCLE_1)
	v_mov_b64_e32 v[2:3], s[10:11]
	s_wait_xcnt 0x0
	global_store_b64 v0, v[2:3], s[6:7] scope:SCOPE_SYS
.LBB0_3752:                             ;   Parent Loop BB0_2003 Depth=1
                                        ; =>  This Inner Loop Header: Depth=2
	global_load_b64 v[2:3], v0, s[4:5] scope:SCOPE_SYS
	s_wait_loadcnt 0x0
	v_cmp_ne_u64_e32 vcc_lo, s[10:11], v[2:3]
	s_cbranch_vccnz .LBB0_3752
; %bb.3753:                             ;   in Loop: Header=BB0_2003 Depth=1
	s_add_co_i32 s10, s8, 0x36b
	s_mov_b32 s11, s9
	s_delay_alu instid0(SALU_CYCLE_1)
	v_mov_b64_e32 v[2:3], s[10:11]
	s_wait_xcnt 0x0
	global_store_b64 v0, v[2:3], s[6:7] scope:SCOPE_SYS
.LBB0_3754:                             ;   Parent Loop BB0_2003 Depth=1
                                        ; =>  This Inner Loop Header: Depth=2
	global_load_b64 v[2:3], v0, s[4:5] scope:SCOPE_SYS
	s_wait_loadcnt 0x0
	v_cmp_ne_u64_e32 vcc_lo, s[10:11], v[2:3]
	s_cbranch_vccnz .LBB0_3754
; %bb.3755:                             ;   in Loop: Header=BB0_2003 Depth=1
	s_add_co_i32 s10, s8, 0x36c
	s_mov_b32 s11, s9
	s_delay_alu instid0(SALU_CYCLE_1)
	v_mov_b64_e32 v[2:3], s[10:11]
	s_wait_xcnt 0x0
	global_store_b64 v0, v[2:3], s[6:7] scope:SCOPE_SYS
.LBB0_3756:                             ;   Parent Loop BB0_2003 Depth=1
                                        ; =>  This Inner Loop Header: Depth=2
	global_load_b64 v[2:3], v0, s[4:5] scope:SCOPE_SYS
	s_wait_loadcnt 0x0
	v_cmp_ne_u64_e32 vcc_lo, s[10:11], v[2:3]
	s_cbranch_vccnz .LBB0_3756
; %bb.3757:                             ;   in Loop: Header=BB0_2003 Depth=1
	s_add_co_i32 s10, s8, 0x36d
	s_mov_b32 s11, s9
	s_delay_alu instid0(SALU_CYCLE_1)
	v_mov_b64_e32 v[2:3], s[10:11]
	s_wait_xcnt 0x0
	global_store_b64 v0, v[2:3], s[6:7] scope:SCOPE_SYS
.LBB0_3758:                             ;   Parent Loop BB0_2003 Depth=1
                                        ; =>  This Inner Loop Header: Depth=2
	global_load_b64 v[2:3], v0, s[4:5] scope:SCOPE_SYS
	s_wait_loadcnt 0x0
	v_cmp_ne_u64_e32 vcc_lo, s[10:11], v[2:3]
	s_cbranch_vccnz .LBB0_3758
; %bb.3759:                             ;   in Loop: Header=BB0_2003 Depth=1
	s_add_co_i32 s10, s8, 0x36e
	s_mov_b32 s11, s9
	s_delay_alu instid0(SALU_CYCLE_1)
	v_mov_b64_e32 v[2:3], s[10:11]
	s_wait_xcnt 0x0
	global_store_b64 v0, v[2:3], s[6:7] scope:SCOPE_SYS
.LBB0_3760:                             ;   Parent Loop BB0_2003 Depth=1
                                        ; =>  This Inner Loop Header: Depth=2
	global_load_b64 v[2:3], v0, s[4:5] scope:SCOPE_SYS
	s_wait_loadcnt 0x0
	v_cmp_ne_u64_e32 vcc_lo, s[10:11], v[2:3]
	s_cbranch_vccnz .LBB0_3760
; %bb.3761:                             ;   in Loop: Header=BB0_2003 Depth=1
	s_add_co_i32 s10, s8, 0x36f
	s_mov_b32 s11, s9
	s_delay_alu instid0(SALU_CYCLE_1)
	v_mov_b64_e32 v[2:3], s[10:11]
	s_wait_xcnt 0x0
	global_store_b64 v0, v[2:3], s[6:7] scope:SCOPE_SYS
.LBB0_3762:                             ;   Parent Loop BB0_2003 Depth=1
                                        ; =>  This Inner Loop Header: Depth=2
	global_load_b64 v[2:3], v0, s[4:5] scope:SCOPE_SYS
	s_wait_loadcnt 0x0
	v_cmp_ne_u64_e32 vcc_lo, s[10:11], v[2:3]
	s_cbranch_vccnz .LBB0_3762
; %bb.3763:                             ;   in Loop: Header=BB0_2003 Depth=1
	s_add_co_i32 s10, s8, 0x370
	s_mov_b32 s11, s9
	s_delay_alu instid0(SALU_CYCLE_1)
	v_mov_b64_e32 v[2:3], s[10:11]
	s_wait_xcnt 0x0
	global_store_b64 v0, v[2:3], s[6:7] scope:SCOPE_SYS
.LBB0_3764:                             ;   Parent Loop BB0_2003 Depth=1
                                        ; =>  This Inner Loop Header: Depth=2
	global_load_b64 v[2:3], v0, s[4:5] scope:SCOPE_SYS
	s_wait_loadcnt 0x0
	v_cmp_ne_u64_e32 vcc_lo, s[10:11], v[2:3]
	s_cbranch_vccnz .LBB0_3764
; %bb.3765:                             ;   in Loop: Header=BB0_2003 Depth=1
	s_add_co_i32 s10, s8, 0x371
	s_mov_b32 s11, s9
	s_delay_alu instid0(SALU_CYCLE_1)
	v_mov_b64_e32 v[2:3], s[10:11]
	s_wait_xcnt 0x0
	global_store_b64 v0, v[2:3], s[6:7] scope:SCOPE_SYS
.LBB0_3766:                             ;   Parent Loop BB0_2003 Depth=1
                                        ; =>  This Inner Loop Header: Depth=2
	global_load_b64 v[2:3], v0, s[4:5] scope:SCOPE_SYS
	s_wait_loadcnt 0x0
	v_cmp_ne_u64_e32 vcc_lo, s[10:11], v[2:3]
	s_cbranch_vccnz .LBB0_3766
; %bb.3767:                             ;   in Loop: Header=BB0_2003 Depth=1
	s_add_co_i32 s10, s8, 0x372
	s_mov_b32 s11, s9
	s_delay_alu instid0(SALU_CYCLE_1)
	v_mov_b64_e32 v[2:3], s[10:11]
	s_wait_xcnt 0x0
	global_store_b64 v0, v[2:3], s[6:7] scope:SCOPE_SYS
.LBB0_3768:                             ;   Parent Loop BB0_2003 Depth=1
                                        ; =>  This Inner Loop Header: Depth=2
	global_load_b64 v[2:3], v0, s[4:5] scope:SCOPE_SYS
	s_wait_loadcnt 0x0
	v_cmp_ne_u64_e32 vcc_lo, s[10:11], v[2:3]
	s_cbranch_vccnz .LBB0_3768
; %bb.3769:                             ;   in Loop: Header=BB0_2003 Depth=1
	s_add_co_i32 s10, s8, 0x373
	s_mov_b32 s11, s9
	s_delay_alu instid0(SALU_CYCLE_1)
	v_mov_b64_e32 v[2:3], s[10:11]
	s_wait_xcnt 0x0
	global_store_b64 v0, v[2:3], s[6:7] scope:SCOPE_SYS
.LBB0_3770:                             ;   Parent Loop BB0_2003 Depth=1
                                        ; =>  This Inner Loop Header: Depth=2
	global_load_b64 v[2:3], v0, s[4:5] scope:SCOPE_SYS
	s_wait_loadcnt 0x0
	v_cmp_ne_u64_e32 vcc_lo, s[10:11], v[2:3]
	s_cbranch_vccnz .LBB0_3770
; %bb.3771:                             ;   in Loop: Header=BB0_2003 Depth=1
	s_add_co_i32 s10, s8, 0x374
	s_mov_b32 s11, s9
	s_delay_alu instid0(SALU_CYCLE_1)
	v_mov_b64_e32 v[2:3], s[10:11]
	s_wait_xcnt 0x0
	global_store_b64 v0, v[2:3], s[6:7] scope:SCOPE_SYS
.LBB0_3772:                             ;   Parent Loop BB0_2003 Depth=1
                                        ; =>  This Inner Loop Header: Depth=2
	global_load_b64 v[2:3], v0, s[4:5] scope:SCOPE_SYS
	s_wait_loadcnt 0x0
	v_cmp_ne_u64_e32 vcc_lo, s[10:11], v[2:3]
	s_cbranch_vccnz .LBB0_3772
; %bb.3773:                             ;   in Loop: Header=BB0_2003 Depth=1
	s_add_co_i32 s10, s8, 0x375
	s_mov_b32 s11, s9
	s_delay_alu instid0(SALU_CYCLE_1)
	v_mov_b64_e32 v[2:3], s[10:11]
	s_wait_xcnt 0x0
	global_store_b64 v0, v[2:3], s[6:7] scope:SCOPE_SYS
.LBB0_3774:                             ;   Parent Loop BB0_2003 Depth=1
                                        ; =>  This Inner Loop Header: Depth=2
	global_load_b64 v[2:3], v0, s[4:5] scope:SCOPE_SYS
	s_wait_loadcnt 0x0
	v_cmp_ne_u64_e32 vcc_lo, s[10:11], v[2:3]
	s_cbranch_vccnz .LBB0_3774
; %bb.3775:                             ;   in Loop: Header=BB0_2003 Depth=1
	s_add_co_i32 s10, s8, 0x376
	s_mov_b32 s11, s9
	s_delay_alu instid0(SALU_CYCLE_1)
	v_mov_b64_e32 v[2:3], s[10:11]
	s_wait_xcnt 0x0
	global_store_b64 v0, v[2:3], s[6:7] scope:SCOPE_SYS
.LBB0_3776:                             ;   Parent Loop BB0_2003 Depth=1
                                        ; =>  This Inner Loop Header: Depth=2
	global_load_b64 v[2:3], v0, s[4:5] scope:SCOPE_SYS
	s_wait_loadcnt 0x0
	v_cmp_ne_u64_e32 vcc_lo, s[10:11], v[2:3]
	s_cbranch_vccnz .LBB0_3776
; %bb.3777:                             ;   in Loop: Header=BB0_2003 Depth=1
	s_add_co_i32 s10, s8, 0x377
	s_mov_b32 s11, s9
	s_delay_alu instid0(SALU_CYCLE_1)
	v_mov_b64_e32 v[2:3], s[10:11]
	s_wait_xcnt 0x0
	global_store_b64 v0, v[2:3], s[6:7] scope:SCOPE_SYS
.LBB0_3778:                             ;   Parent Loop BB0_2003 Depth=1
                                        ; =>  This Inner Loop Header: Depth=2
	global_load_b64 v[2:3], v0, s[4:5] scope:SCOPE_SYS
	s_wait_loadcnt 0x0
	v_cmp_ne_u64_e32 vcc_lo, s[10:11], v[2:3]
	s_cbranch_vccnz .LBB0_3778
; %bb.3779:                             ;   in Loop: Header=BB0_2003 Depth=1
	s_add_co_i32 s10, s8, 0x378
	s_mov_b32 s11, s9
	s_delay_alu instid0(SALU_CYCLE_1)
	v_mov_b64_e32 v[2:3], s[10:11]
	s_wait_xcnt 0x0
	global_store_b64 v0, v[2:3], s[6:7] scope:SCOPE_SYS
.LBB0_3780:                             ;   Parent Loop BB0_2003 Depth=1
                                        ; =>  This Inner Loop Header: Depth=2
	global_load_b64 v[2:3], v0, s[4:5] scope:SCOPE_SYS
	s_wait_loadcnt 0x0
	v_cmp_ne_u64_e32 vcc_lo, s[10:11], v[2:3]
	s_cbranch_vccnz .LBB0_3780
; %bb.3781:                             ;   in Loop: Header=BB0_2003 Depth=1
	s_add_co_i32 s10, s8, 0x379
	s_mov_b32 s11, s9
	s_delay_alu instid0(SALU_CYCLE_1)
	v_mov_b64_e32 v[2:3], s[10:11]
	s_wait_xcnt 0x0
	global_store_b64 v0, v[2:3], s[6:7] scope:SCOPE_SYS
.LBB0_3782:                             ;   Parent Loop BB0_2003 Depth=1
                                        ; =>  This Inner Loop Header: Depth=2
	global_load_b64 v[2:3], v0, s[4:5] scope:SCOPE_SYS
	s_wait_loadcnt 0x0
	v_cmp_ne_u64_e32 vcc_lo, s[10:11], v[2:3]
	s_cbranch_vccnz .LBB0_3782
; %bb.3783:                             ;   in Loop: Header=BB0_2003 Depth=1
	s_add_co_i32 s10, s8, 0x37a
	s_mov_b32 s11, s9
	s_delay_alu instid0(SALU_CYCLE_1)
	v_mov_b64_e32 v[2:3], s[10:11]
	s_wait_xcnt 0x0
	global_store_b64 v0, v[2:3], s[6:7] scope:SCOPE_SYS
.LBB0_3784:                             ;   Parent Loop BB0_2003 Depth=1
                                        ; =>  This Inner Loop Header: Depth=2
	global_load_b64 v[2:3], v0, s[4:5] scope:SCOPE_SYS
	s_wait_loadcnt 0x0
	v_cmp_ne_u64_e32 vcc_lo, s[10:11], v[2:3]
	s_cbranch_vccnz .LBB0_3784
; %bb.3785:                             ;   in Loop: Header=BB0_2003 Depth=1
	s_add_co_i32 s10, s8, 0x37b
	s_mov_b32 s11, s9
	s_delay_alu instid0(SALU_CYCLE_1)
	v_mov_b64_e32 v[2:3], s[10:11]
	s_wait_xcnt 0x0
	global_store_b64 v0, v[2:3], s[6:7] scope:SCOPE_SYS
.LBB0_3786:                             ;   Parent Loop BB0_2003 Depth=1
                                        ; =>  This Inner Loop Header: Depth=2
	global_load_b64 v[2:3], v0, s[4:5] scope:SCOPE_SYS
	s_wait_loadcnt 0x0
	v_cmp_ne_u64_e32 vcc_lo, s[10:11], v[2:3]
	s_cbranch_vccnz .LBB0_3786
; %bb.3787:                             ;   in Loop: Header=BB0_2003 Depth=1
	s_add_co_i32 s10, s8, 0x37c
	s_mov_b32 s11, s9
	s_delay_alu instid0(SALU_CYCLE_1)
	v_mov_b64_e32 v[2:3], s[10:11]
	s_wait_xcnt 0x0
	global_store_b64 v0, v[2:3], s[6:7] scope:SCOPE_SYS
.LBB0_3788:                             ;   Parent Loop BB0_2003 Depth=1
                                        ; =>  This Inner Loop Header: Depth=2
	global_load_b64 v[2:3], v0, s[4:5] scope:SCOPE_SYS
	s_wait_loadcnt 0x0
	v_cmp_ne_u64_e32 vcc_lo, s[10:11], v[2:3]
	s_cbranch_vccnz .LBB0_3788
; %bb.3789:                             ;   in Loop: Header=BB0_2003 Depth=1
	s_add_co_i32 s10, s8, 0x37d
	s_mov_b32 s11, s9
	s_delay_alu instid0(SALU_CYCLE_1)
	v_mov_b64_e32 v[2:3], s[10:11]
	s_wait_xcnt 0x0
	global_store_b64 v0, v[2:3], s[6:7] scope:SCOPE_SYS
.LBB0_3790:                             ;   Parent Loop BB0_2003 Depth=1
                                        ; =>  This Inner Loop Header: Depth=2
	global_load_b64 v[2:3], v0, s[4:5] scope:SCOPE_SYS
	s_wait_loadcnt 0x0
	v_cmp_ne_u64_e32 vcc_lo, s[10:11], v[2:3]
	s_cbranch_vccnz .LBB0_3790
; %bb.3791:                             ;   in Loop: Header=BB0_2003 Depth=1
	s_add_co_i32 s10, s8, 0x37e
	s_mov_b32 s11, s9
	s_delay_alu instid0(SALU_CYCLE_1)
	v_mov_b64_e32 v[2:3], s[10:11]
	s_wait_xcnt 0x0
	global_store_b64 v0, v[2:3], s[6:7] scope:SCOPE_SYS
.LBB0_3792:                             ;   Parent Loop BB0_2003 Depth=1
                                        ; =>  This Inner Loop Header: Depth=2
	global_load_b64 v[2:3], v0, s[4:5] scope:SCOPE_SYS
	s_wait_loadcnt 0x0
	v_cmp_ne_u64_e32 vcc_lo, s[10:11], v[2:3]
	s_cbranch_vccnz .LBB0_3792
; %bb.3793:                             ;   in Loop: Header=BB0_2003 Depth=1
	s_add_co_i32 s10, s8, 0x37f
	s_mov_b32 s11, s9
	s_delay_alu instid0(SALU_CYCLE_1)
	v_mov_b64_e32 v[2:3], s[10:11]
	s_wait_xcnt 0x0
	global_store_b64 v0, v[2:3], s[6:7] scope:SCOPE_SYS
.LBB0_3794:                             ;   Parent Loop BB0_2003 Depth=1
                                        ; =>  This Inner Loop Header: Depth=2
	global_load_b64 v[2:3], v0, s[4:5] scope:SCOPE_SYS
	s_wait_loadcnt 0x0
	v_cmp_ne_u64_e32 vcc_lo, s[10:11], v[2:3]
	s_cbranch_vccnz .LBB0_3794
; %bb.3795:                             ;   in Loop: Header=BB0_2003 Depth=1
	s_add_co_i32 s10, s8, 0x380
	s_mov_b32 s11, s9
	s_delay_alu instid0(SALU_CYCLE_1)
	v_mov_b64_e32 v[2:3], s[10:11]
	s_wait_xcnt 0x0
	global_store_b64 v0, v[2:3], s[6:7] scope:SCOPE_SYS
.LBB0_3796:                             ;   Parent Loop BB0_2003 Depth=1
                                        ; =>  This Inner Loop Header: Depth=2
	global_load_b64 v[2:3], v0, s[4:5] scope:SCOPE_SYS
	s_wait_loadcnt 0x0
	v_cmp_ne_u64_e32 vcc_lo, s[10:11], v[2:3]
	s_cbranch_vccnz .LBB0_3796
; %bb.3797:                             ;   in Loop: Header=BB0_2003 Depth=1
	s_add_co_i32 s10, s8, 0x381
	s_mov_b32 s11, s9
	s_delay_alu instid0(SALU_CYCLE_1)
	v_mov_b64_e32 v[2:3], s[10:11]
	s_wait_xcnt 0x0
	global_store_b64 v0, v[2:3], s[6:7] scope:SCOPE_SYS
.LBB0_3798:                             ;   Parent Loop BB0_2003 Depth=1
                                        ; =>  This Inner Loop Header: Depth=2
	global_load_b64 v[2:3], v0, s[4:5] scope:SCOPE_SYS
	s_wait_loadcnt 0x0
	v_cmp_ne_u64_e32 vcc_lo, s[10:11], v[2:3]
	s_cbranch_vccnz .LBB0_3798
; %bb.3799:                             ;   in Loop: Header=BB0_2003 Depth=1
	s_add_co_i32 s10, s8, 0x382
	s_mov_b32 s11, s9
	s_delay_alu instid0(SALU_CYCLE_1)
	v_mov_b64_e32 v[2:3], s[10:11]
	s_wait_xcnt 0x0
	global_store_b64 v0, v[2:3], s[6:7] scope:SCOPE_SYS
.LBB0_3800:                             ;   Parent Loop BB0_2003 Depth=1
                                        ; =>  This Inner Loop Header: Depth=2
	global_load_b64 v[2:3], v0, s[4:5] scope:SCOPE_SYS
	s_wait_loadcnt 0x0
	v_cmp_ne_u64_e32 vcc_lo, s[10:11], v[2:3]
	s_cbranch_vccnz .LBB0_3800
; %bb.3801:                             ;   in Loop: Header=BB0_2003 Depth=1
	s_add_co_i32 s10, s8, 0x383
	s_mov_b32 s11, s9
	s_delay_alu instid0(SALU_CYCLE_1)
	v_mov_b64_e32 v[2:3], s[10:11]
	s_wait_xcnt 0x0
	global_store_b64 v0, v[2:3], s[6:7] scope:SCOPE_SYS
.LBB0_3802:                             ;   Parent Loop BB0_2003 Depth=1
                                        ; =>  This Inner Loop Header: Depth=2
	global_load_b64 v[2:3], v0, s[4:5] scope:SCOPE_SYS
	s_wait_loadcnt 0x0
	v_cmp_ne_u64_e32 vcc_lo, s[10:11], v[2:3]
	s_cbranch_vccnz .LBB0_3802
; %bb.3803:                             ;   in Loop: Header=BB0_2003 Depth=1
	s_add_co_i32 s10, s8, 0x384
	s_mov_b32 s11, s9
	s_delay_alu instid0(SALU_CYCLE_1)
	v_mov_b64_e32 v[2:3], s[10:11]
	s_wait_xcnt 0x0
	global_store_b64 v0, v[2:3], s[6:7] scope:SCOPE_SYS
.LBB0_3804:                             ;   Parent Loop BB0_2003 Depth=1
                                        ; =>  This Inner Loop Header: Depth=2
	global_load_b64 v[2:3], v0, s[4:5] scope:SCOPE_SYS
	s_wait_loadcnt 0x0
	v_cmp_ne_u64_e32 vcc_lo, s[10:11], v[2:3]
	s_cbranch_vccnz .LBB0_3804
; %bb.3805:                             ;   in Loop: Header=BB0_2003 Depth=1
	s_add_co_i32 s10, s8, 0x385
	s_mov_b32 s11, s9
	s_delay_alu instid0(SALU_CYCLE_1)
	v_mov_b64_e32 v[2:3], s[10:11]
	s_wait_xcnt 0x0
	global_store_b64 v0, v[2:3], s[6:7] scope:SCOPE_SYS
.LBB0_3806:                             ;   Parent Loop BB0_2003 Depth=1
                                        ; =>  This Inner Loop Header: Depth=2
	global_load_b64 v[2:3], v0, s[4:5] scope:SCOPE_SYS
	s_wait_loadcnt 0x0
	v_cmp_ne_u64_e32 vcc_lo, s[10:11], v[2:3]
	s_cbranch_vccnz .LBB0_3806
; %bb.3807:                             ;   in Loop: Header=BB0_2003 Depth=1
	s_add_co_i32 s10, s8, 0x386
	s_mov_b32 s11, s9
	s_delay_alu instid0(SALU_CYCLE_1)
	v_mov_b64_e32 v[2:3], s[10:11]
	s_wait_xcnt 0x0
	global_store_b64 v0, v[2:3], s[6:7] scope:SCOPE_SYS
.LBB0_3808:                             ;   Parent Loop BB0_2003 Depth=1
                                        ; =>  This Inner Loop Header: Depth=2
	global_load_b64 v[2:3], v0, s[4:5] scope:SCOPE_SYS
	s_wait_loadcnt 0x0
	v_cmp_ne_u64_e32 vcc_lo, s[10:11], v[2:3]
	s_cbranch_vccnz .LBB0_3808
; %bb.3809:                             ;   in Loop: Header=BB0_2003 Depth=1
	s_add_co_i32 s10, s8, 0x387
	s_mov_b32 s11, s9
	s_delay_alu instid0(SALU_CYCLE_1)
	v_mov_b64_e32 v[2:3], s[10:11]
	s_wait_xcnt 0x0
	global_store_b64 v0, v[2:3], s[6:7] scope:SCOPE_SYS
.LBB0_3810:                             ;   Parent Loop BB0_2003 Depth=1
                                        ; =>  This Inner Loop Header: Depth=2
	global_load_b64 v[2:3], v0, s[4:5] scope:SCOPE_SYS
	s_wait_loadcnt 0x0
	v_cmp_ne_u64_e32 vcc_lo, s[10:11], v[2:3]
	s_cbranch_vccnz .LBB0_3810
; %bb.3811:                             ;   in Loop: Header=BB0_2003 Depth=1
	s_add_co_i32 s10, s8, 0x388
	s_mov_b32 s11, s9
	s_delay_alu instid0(SALU_CYCLE_1)
	v_mov_b64_e32 v[2:3], s[10:11]
	s_wait_xcnt 0x0
	global_store_b64 v0, v[2:3], s[6:7] scope:SCOPE_SYS
.LBB0_3812:                             ;   Parent Loop BB0_2003 Depth=1
                                        ; =>  This Inner Loop Header: Depth=2
	global_load_b64 v[2:3], v0, s[4:5] scope:SCOPE_SYS
	s_wait_loadcnt 0x0
	v_cmp_ne_u64_e32 vcc_lo, s[10:11], v[2:3]
	s_cbranch_vccnz .LBB0_3812
; %bb.3813:                             ;   in Loop: Header=BB0_2003 Depth=1
	s_add_co_i32 s10, s8, 0x389
	s_mov_b32 s11, s9
	s_delay_alu instid0(SALU_CYCLE_1)
	v_mov_b64_e32 v[2:3], s[10:11]
	s_wait_xcnt 0x0
	global_store_b64 v0, v[2:3], s[6:7] scope:SCOPE_SYS
.LBB0_3814:                             ;   Parent Loop BB0_2003 Depth=1
                                        ; =>  This Inner Loop Header: Depth=2
	global_load_b64 v[2:3], v0, s[4:5] scope:SCOPE_SYS
	s_wait_loadcnt 0x0
	v_cmp_ne_u64_e32 vcc_lo, s[10:11], v[2:3]
	s_cbranch_vccnz .LBB0_3814
; %bb.3815:                             ;   in Loop: Header=BB0_2003 Depth=1
	s_add_co_i32 s10, s8, 0x38a
	s_mov_b32 s11, s9
	s_delay_alu instid0(SALU_CYCLE_1)
	v_mov_b64_e32 v[2:3], s[10:11]
	s_wait_xcnt 0x0
	global_store_b64 v0, v[2:3], s[6:7] scope:SCOPE_SYS
.LBB0_3816:                             ;   Parent Loop BB0_2003 Depth=1
                                        ; =>  This Inner Loop Header: Depth=2
	global_load_b64 v[2:3], v0, s[4:5] scope:SCOPE_SYS
	s_wait_loadcnt 0x0
	v_cmp_ne_u64_e32 vcc_lo, s[10:11], v[2:3]
	s_cbranch_vccnz .LBB0_3816
; %bb.3817:                             ;   in Loop: Header=BB0_2003 Depth=1
	s_add_co_i32 s10, s8, 0x38b
	s_mov_b32 s11, s9
	s_delay_alu instid0(SALU_CYCLE_1)
	v_mov_b64_e32 v[2:3], s[10:11]
	s_wait_xcnt 0x0
	global_store_b64 v0, v[2:3], s[6:7] scope:SCOPE_SYS
.LBB0_3818:                             ;   Parent Loop BB0_2003 Depth=1
                                        ; =>  This Inner Loop Header: Depth=2
	global_load_b64 v[2:3], v0, s[4:5] scope:SCOPE_SYS
	s_wait_loadcnt 0x0
	v_cmp_ne_u64_e32 vcc_lo, s[10:11], v[2:3]
	s_cbranch_vccnz .LBB0_3818
; %bb.3819:                             ;   in Loop: Header=BB0_2003 Depth=1
	s_add_co_i32 s10, s8, 0x38c
	s_mov_b32 s11, s9
	s_delay_alu instid0(SALU_CYCLE_1)
	v_mov_b64_e32 v[2:3], s[10:11]
	s_wait_xcnt 0x0
	global_store_b64 v0, v[2:3], s[6:7] scope:SCOPE_SYS
.LBB0_3820:                             ;   Parent Loop BB0_2003 Depth=1
                                        ; =>  This Inner Loop Header: Depth=2
	global_load_b64 v[2:3], v0, s[4:5] scope:SCOPE_SYS
	s_wait_loadcnt 0x0
	v_cmp_ne_u64_e32 vcc_lo, s[10:11], v[2:3]
	s_cbranch_vccnz .LBB0_3820
; %bb.3821:                             ;   in Loop: Header=BB0_2003 Depth=1
	s_add_co_i32 s10, s8, 0x38d
	s_mov_b32 s11, s9
	s_delay_alu instid0(SALU_CYCLE_1)
	v_mov_b64_e32 v[2:3], s[10:11]
	s_wait_xcnt 0x0
	global_store_b64 v0, v[2:3], s[6:7] scope:SCOPE_SYS
.LBB0_3822:                             ;   Parent Loop BB0_2003 Depth=1
                                        ; =>  This Inner Loop Header: Depth=2
	global_load_b64 v[2:3], v0, s[4:5] scope:SCOPE_SYS
	s_wait_loadcnt 0x0
	v_cmp_ne_u64_e32 vcc_lo, s[10:11], v[2:3]
	s_cbranch_vccnz .LBB0_3822
; %bb.3823:                             ;   in Loop: Header=BB0_2003 Depth=1
	s_add_co_i32 s10, s8, 0x38e
	s_mov_b32 s11, s9
	s_delay_alu instid0(SALU_CYCLE_1)
	v_mov_b64_e32 v[2:3], s[10:11]
	s_wait_xcnt 0x0
	global_store_b64 v0, v[2:3], s[6:7] scope:SCOPE_SYS
.LBB0_3824:                             ;   Parent Loop BB0_2003 Depth=1
                                        ; =>  This Inner Loop Header: Depth=2
	global_load_b64 v[2:3], v0, s[4:5] scope:SCOPE_SYS
	s_wait_loadcnt 0x0
	v_cmp_ne_u64_e32 vcc_lo, s[10:11], v[2:3]
	s_cbranch_vccnz .LBB0_3824
; %bb.3825:                             ;   in Loop: Header=BB0_2003 Depth=1
	s_add_co_i32 s10, s8, 0x38f
	s_mov_b32 s11, s9
	s_delay_alu instid0(SALU_CYCLE_1)
	v_mov_b64_e32 v[2:3], s[10:11]
	s_wait_xcnt 0x0
	global_store_b64 v0, v[2:3], s[6:7] scope:SCOPE_SYS
.LBB0_3826:                             ;   Parent Loop BB0_2003 Depth=1
                                        ; =>  This Inner Loop Header: Depth=2
	global_load_b64 v[2:3], v0, s[4:5] scope:SCOPE_SYS
	s_wait_loadcnt 0x0
	v_cmp_ne_u64_e32 vcc_lo, s[10:11], v[2:3]
	s_cbranch_vccnz .LBB0_3826
; %bb.3827:                             ;   in Loop: Header=BB0_2003 Depth=1
	s_add_co_i32 s10, s8, 0x390
	s_mov_b32 s11, s9
	s_delay_alu instid0(SALU_CYCLE_1)
	v_mov_b64_e32 v[2:3], s[10:11]
	s_wait_xcnt 0x0
	global_store_b64 v0, v[2:3], s[6:7] scope:SCOPE_SYS
.LBB0_3828:                             ;   Parent Loop BB0_2003 Depth=1
                                        ; =>  This Inner Loop Header: Depth=2
	global_load_b64 v[2:3], v0, s[4:5] scope:SCOPE_SYS
	s_wait_loadcnt 0x0
	v_cmp_ne_u64_e32 vcc_lo, s[10:11], v[2:3]
	s_cbranch_vccnz .LBB0_3828
; %bb.3829:                             ;   in Loop: Header=BB0_2003 Depth=1
	s_add_co_i32 s10, s8, 0x391
	s_mov_b32 s11, s9
	s_delay_alu instid0(SALU_CYCLE_1)
	v_mov_b64_e32 v[2:3], s[10:11]
	s_wait_xcnt 0x0
	global_store_b64 v0, v[2:3], s[6:7] scope:SCOPE_SYS
.LBB0_3830:                             ;   Parent Loop BB0_2003 Depth=1
                                        ; =>  This Inner Loop Header: Depth=2
	global_load_b64 v[2:3], v0, s[4:5] scope:SCOPE_SYS
	s_wait_loadcnt 0x0
	v_cmp_ne_u64_e32 vcc_lo, s[10:11], v[2:3]
	s_cbranch_vccnz .LBB0_3830
; %bb.3831:                             ;   in Loop: Header=BB0_2003 Depth=1
	s_add_co_i32 s10, s8, 0x392
	s_mov_b32 s11, s9
	s_delay_alu instid0(SALU_CYCLE_1)
	v_mov_b64_e32 v[2:3], s[10:11]
	s_wait_xcnt 0x0
	global_store_b64 v0, v[2:3], s[6:7] scope:SCOPE_SYS
.LBB0_3832:                             ;   Parent Loop BB0_2003 Depth=1
                                        ; =>  This Inner Loop Header: Depth=2
	global_load_b64 v[2:3], v0, s[4:5] scope:SCOPE_SYS
	s_wait_loadcnt 0x0
	v_cmp_ne_u64_e32 vcc_lo, s[10:11], v[2:3]
	s_cbranch_vccnz .LBB0_3832
; %bb.3833:                             ;   in Loop: Header=BB0_2003 Depth=1
	s_add_co_i32 s10, s8, 0x393
	s_mov_b32 s11, s9
	s_delay_alu instid0(SALU_CYCLE_1)
	v_mov_b64_e32 v[2:3], s[10:11]
	s_wait_xcnt 0x0
	global_store_b64 v0, v[2:3], s[6:7] scope:SCOPE_SYS
.LBB0_3834:                             ;   Parent Loop BB0_2003 Depth=1
                                        ; =>  This Inner Loop Header: Depth=2
	global_load_b64 v[2:3], v0, s[4:5] scope:SCOPE_SYS
	s_wait_loadcnt 0x0
	v_cmp_ne_u64_e32 vcc_lo, s[10:11], v[2:3]
	s_cbranch_vccnz .LBB0_3834
; %bb.3835:                             ;   in Loop: Header=BB0_2003 Depth=1
	s_add_co_i32 s10, s8, 0x394
	s_mov_b32 s11, s9
	s_delay_alu instid0(SALU_CYCLE_1)
	v_mov_b64_e32 v[2:3], s[10:11]
	s_wait_xcnt 0x0
	global_store_b64 v0, v[2:3], s[6:7] scope:SCOPE_SYS
.LBB0_3836:                             ;   Parent Loop BB0_2003 Depth=1
                                        ; =>  This Inner Loop Header: Depth=2
	global_load_b64 v[2:3], v0, s[4:5] scope:SCOPE_SYS
	s_wait_loadcnt 0x0
	v_cmp_ne_u64_e32 vcc_lo, s[10:11], v[2:3]
	s_cbranch_vccnz .LBB0_3836
; %bb.3837:                             ;   in Loop: Header=BB0_2003 Depth=1
	s_add_co_i32 s10, s8, 0x395
	s_mov_b32 s11, s9
	s_delay_alu instid0(SALU_CYCLE_1)
	v_mov_b64_e32 v[2:3], s[10:11]
	s_wait_xcnt 0x0
	global_store_b64 v0, v[2:3], s[6:7] scope:SCOPE_SYS
.LBB0_3838:                             ;   Parent Loop BB0_2003 Depth=1
                                        ; =>  This Inner Loop Header: Depth=2
	global_load_b64 v[2:3], v0, s[4:5] scope:SCOPE_SYS
	s_wait_loadcnt 0x0
	v_cmp_ne_u64_e32 vcc_lo, s[10:11], v[2:3]
	s_cbranch_vccnz .LBB0_3838
; %bb.3839:                             ;   in Loop: Header=BB0_2003 Depth=1
	s_add_co_i32 s10, s8, 0x396
	s_mov_b32 s11, s9
	s_delay_alu instid0(SALU_CYCLE_1)
	v_mov_b64_e32 v[2:3], s[10:11]
	s_wait_xcnt 0x0
	global_store_b64 v0, v[2:3], s[6:7] scope:SCOPE_SYS
.LBB0_3840:                             ;   Parent Loop BB0_2003 Depth=1
                                        ; =>  This Inner Loop Header: Depth=2
	global_load_b64 v[2:3], v0, s[4:5] scope:SCOPE_SYS
	s_wait_loadcnt 0x0
	v_cmp_ne_u64_e32 vcc_lo, s[10:11], v[2:3]
	s_cbranch_vccnz .LBB0_3840
; %bb.3841:                             ;   in Loop: Header=BB0_2003 Depth=1
	s_add_co_i32 s10, s8, 0x397
	s_mov_b32 s11, s9
	s_delay_alu instid0(SALU_CYCLE_1)
	v_mov_b64_e32 v[2:3], s[10:11]
	s_wait_xcnt 0x0
	global_store_b64 v0, v[2:3], s[6:7] scope:SCOPE_SYS
.LBB0_3842:                             ;   Parent Loop BB0_2003 Depth=1
                                        ; =>  This Inner Loop Header: Depth=2
	global_load_b64 v[2:3], v0, s[4:5] scope:SCOPE_SYS
	s_wait_loadcnt 0x0
	v_cmp_ne_u64_e32 vcc_lo, s[10:11], v[2:3]
	s_cbranch_vccnz .LBB0_3842
; %bb.3843:                             ;   in Loop: Header=BB0_2003 Depth=1
	s_add_co_i32 s10, s8, 0x398
	s_mov_b32 s11, s9
	s_delay_alu instid0(SALU_CYCLE_1)
	v_mov_b64_e32 v[2:3], s[10:11]
	s_wait_xcnt 0x0
	global_store_b64 v0, v[2:3], s[6:7] scope:SCOPE_SYS
.LBB0_3844:                             ;   Parent Loop BB0_2003 Depth=1
                                        ; =>  This Inner Loop Header: Depth=2
	global_load_b64 v[2:3], v0, s[4:5] scope:SCOPE_SYS
	s_wait_loadcnt 0x0
	v_cmp_ne_u64_e32 vcc_lo, s[10:11], v[2:3]
	s_cbranch_vccnz .LBB0_3844
; %bb.3845:                             ;   in Loop: Header=BB0_2003 Depth=1
	s_add_co_i32 s10, s8, 0x399
	s_mov_b32 s11, s9
	s_delay_alu instid0(SALU_CYCLE_1)
	v_mov_b64_e32 v[2:3], s[10:11]
	s_wait_xcnt 0x0
	global_store_b64 v0, v[2:3], s[6:7] scope:SCOPE_SYS
.LBB0_3846:                             ;   Parent Loop BB0_2003 Depth=1
                                        ; =>  This Inner Loop Header: Depth=2
	global_load_b64 v[2:3], v0, s[4:5] scope:SCOPE_SYS
	s_wait_loadcnt 0x0
	v_cmp_ne_u64_e32 vcc_lo, s[10:11], v[2:3]
	s_cbranch_vccnz .LBB0_3846
; %bb.3847:                             ;   in Loop: Header=BB0_2003 Depth=1
	s_add_co_i32 s10, s8, 0x39a
	s_mov_b32 s11, s9
	s_delay_alu instid0(SALU_CYCLE_1)
	v_mov_b64_e32 v[2:3], s[10:11]
	s_wait_xcnt 0x0
	global_store_b64 v0, v[2:3], s[6:7] scope:SCOPE_SYS
.LBB0_3848:                             ;   Parent Loop BB0_2003 Depth=1
                                        ; =>  This Inner Loop Header: Depth=2
	global_load_b64 v[2:3], v0, s[4:5] scope:SCOPE_SYS
	s_wait_loadcnt 0x0
	v_cmp_ne_u64_e32 vcc_lo, s[10:11], v[2:3]
	s_cbranch_vccnz .LBB0_3848
; %bb.3849:                             ;   in Loop: Header=BB0_2003 Depth=1
	s_add_co_i32 s10, s8, 0x39b
	s_mov_b32 s11, s9
	s_delay_alu instid0(SALU_CYCLE_1)
	v_mov_b64_e32 v[2:3], s[10:11]
	s_wait_xcnt 0x0
	global_store_b64 v0, v[2:3], s[6:7] scope:SCOPE_SYS
.LBB0_3850:                             ;   Parent Loop BB0_2003 Depth=1
                                        ; =>  This Inner Loop Header: Depth=2
	global_load_b64 v[2:3], v0, s[4:5] scope:SCOPE_SYS
	s_wait_loadcnt 0x0
	v_cmp_ne_u64_e32 vcc_lo, s[10:11], v[2:3]
	s_cbranch_vccnz .LBB0_3850
; %bb.3851:                             ;   in Loop: Header=BB0_2003 Depth=1
	s_add_co_i32 s10, s8, 0x39c
	s_mov_b32 s11, s9
	s_delay_alu instid0(SALU_CYCLE_1)
	v_mov_b64_e32 v[2:3], s[10:11]
	s_wait_xcnt 0x0
	global_store_b64 v0, v[2:3], s[6:7] scope:SCOPE_SYS
.LBB0_3852:                             ;   Parent Loop BB0_2003 Depth=1
                                        ; =>  This Inner Loop Header: Depth=2
	global_load_b64 v[2:3], v0, s[4:5] scope:SCOPE_SYS
	s_wait_loadcnt 0x0
	v_cmp_ne_u64_e32 vcc_lo, s[10:11], v[2:3]
	s_cbranch_vccnz .LBB0_3852
; %bb.3853:                             ;   in Loop: Header=BB0_2003 Depth=1
	s_add_co_i32 s10, s8, 0x39d
	s_mov_b32 s11, s9
	s_delay_alu instid0(SALU_CYCLE_1)
	v_mov_b64_e32 v[2:3], s[10:11]
	s_wait_xcnt 0x0
	global_store_b64 v0, v[2:3], s[6:7] scope:SCOPE_SYS
.LBB0_3854:                             ;   Parent Loop BB0_2003 Depth=1
                                        ; =>  This Inner Loop Header: Depth=2
	global_load_b64 v[2:3], v0, s[4:5] scope:SCOPE_SYS
	s_wait_loadcnt 0x0
	v_cmp_ne_u64_e32 vcc_lo, s[10:11], v[2:3]
	s_cbranch_vccnz .LBB0_3854
; %bb.3855:                             ;   in Loop: Header=BB0_2003 Depth=1
	s_add_co_i32 s10, s8, 0x39e
	s_mov_b32 s11, s9
	s_delay_alu instid0(SALU_CYCLE_1)
	v_mov_b64_e32 v[2:3], s[10:11]
	s_wait_xcnt 0x0
	global_store_b64 v0, v[2:3], s[6:7] scope:SCOPE_SYS
.LBB0_3856:                             ;   Parent Loop BB0_2003 Depth=1
                                        ; =>  This Inner Loop Header: Depth=2
	global_load_b64 v[2:3], v0, s[4:5] scope:SCOPE_SYS
	s_wait_loadcnt 0x0
	v_cmp_ne_u64_e32 vcc_lo, s[10:11], v[2:3]
	s_cbranch_vccnz .LBB0_3856
; %bb.3857:                             ;   in Loop: Header=BB0_2003 Depth=1
	s_add_co_i32 s10, s8, 0x39f
	s_mov_b32 s11, s9
	s_delay_alu instid0(SALU_CYCLE_1)
	v_mov_b64_e32 v[2:3], s[10:11]
	s_wait_xcnt 0x0
	global_store_b64 v0, v[2:3], s[6:7] scope:SCOPE_SYS
.LBB0_3858:                             ;   Parent Loop BB0_2003 Depth=1
                                        ; =>  This Inner Loop Header: Depth=2
	global_load_b64 v[2:3], v0, s[4:5] scope:SCOPE_SYS
	s_wait_loadcnt 0x0
	v_cmp_ne_u64_e32 vcc_lo, s[10:11], v[2:3]
	s_cbranch_vccnz .LBB0_3858
; %bb.3859:                             ;   in Loop: Header=BB0_2003 Depth=1
	s_add_co_i32 s10, s8, 0x3a0
	s_mov_b32 s11, s9
	s_delay_alu instid0(SALU_CYCLE_1)
	v_mov_b64_e32 v[2:3], s[10:11]
	s_wait_xcnt 0x0
	global_store_b64 v0, v[2:3], s[6:7] scope:SCOPE_SYS
.LBB0_3860:                             ;   Parent Loop BB0_2003 Depth=1
                                        ; =>  This Inner Loop Header: Depth=2
	global_load_b64 v[2:3], v0, s[4:5] scope:SCOPE_SYS
	s_wait_loadcnt 0x0
	v_cmp_ne_u64_e32 vcc_lo, s[10:11], v[2:3]
	s_cbranch_vccnz .LBB0_3860
; %bb.3861:                             ;   in Loop: Header=BB0_2003 Depth=1
	s_add_co_i32 s10, s8, 0x3a1
	s_mov_b32 s11, s9
	s_delay_alu instid0(SALU_CYCLE_1)
	v_mov_b64_e32 v[2:3], s[10:11]
	s_wait_xcnt 0x0
	global_store_b64 v0, v[2:3], s[6:7] scope:SCOPE_SYS
.LBB0_3862:                             ;   Parent Loop BB0_2003 Depth=1
                                        ; =>  This Inner Loop Header: Depth=2
	global_load_b64 v[2:3], v0, s[4:5] scope:SCOPE_SYS
	s_wait_loadcnt 0x0
	v_cmp_ne_u64_e32 vcc_lo, s[10:11], v[2:3]
	s_cbranch_vccnz .LBB0_3862
; %bb.3863:                             ;   in Loop: Header=BB0_2003 Depth=1
	s_add_co_i32 s10, s8, 0x3a2
	s_mov_b32 s11, s9
	s_delay_alu instid0(SALU_CYCLE_1)
	v_mov_b64_e32 v[2:3], s[10:11]
	s_wait_xcnt 0x0
	global_store_b64 v0, v[2:3], s[6:7] scope:SCOPE_SYS
.LBB0_3864:                             ;   Parent Loop BB0_2003 Depth=1
                                        ; =>  This Inner Loop Header: Depth=2
	global_load_b64 v[2:3], v0, s[4:5] scope:SCOPE_SYS
	s_wait_loadcnt 0x0
	v_cmp_ne_u64_e32 vcc_lo, s[10:11], v[2:3]
	s_cbranch_vccnz .LBB0_3864
; %bb.3865:                             ;   in Loop: Header=BB0_2003 Depth=1
	s_add_co_i32 s10, s8, 0x3a3
	s_mov_b32 s11, s9
	s_delay_alu instid0(SALU_CYCLE_1)
	v_mov_b64_e32 v[2:3], s[10:11]
	s_wait_xcnt 0x0
	global_store_b64 v0, v[2:3], s[6:7] scope:SCOPE_SYS
.LBB0_3866:                             ;   Parent Loop BB0_2003 Depth=1
                                        ; =>  This Inner Loop Header: Depth=2
	global_load_b64 v[2:3], v0, s[4:5] scope:SCOPE_SYS
	s_wait_loadcnt 0x0
	v_cmp_ne_u64_e32 vcc_lo, s[10:11], v[2:3]
	s_cbranch_vccnz .LBB0_3866
; %bb.3867:                             ;   in Loop: Header=BB0_2003 Depth=1
	s_add_co_i32 s10, s8, 0x3a4
	s_mov_b32 s11, s9
	s_delay_alu instid0(SALU_CYCLE_1)
	v_mov_b64_e32 v[2:3], s[10:11]
	s_wait_xcnt 0x0
	global_store_b64 v0, v[2:3], s[6:7] scope:SCOPE_SYS
.LBB0_3868:                             ;   Parent Loop BB0_2003 Depth=1
                                        ; =>  This Inner Loop Header: Depth=2
	global_load_b64 v[2:3], v0, s[4:5] scope:SCOPE_SYS
	s_wait_loadcnt 0x0
	v_cmp_ne_u64_e32 vcc_lo, s[10:11], v[2:3]
	s_cbranch_vccnz .LBB0_3868
; %bb.3869:                             ;   in Loop: Header=BB0_2003 Depth=1
	s_add_co_i32 s10, s8, 0x3a5
	s_mov_b32 s11, s9
	s_delay_alu instid0(SALU_CYCLE_1)
	v_mov_b64_e32 v[2:3], s[10:11]
	s_wait_xcnt 0x0
	global_store_b64 v0, v[2:3], s[6:7] scope:SCOPE_SYS
.LBB0_3870:                             ;   Parent Loop BB0_2003 Depth=1
                                        ; =>  This Inner Loop Header: Depth=2
	global_load_b64 v[2:3], v0, s[4:5] scope:SCOPE_SYS
	s_wait_loadcnt 0x0
	v_cmp_ne_u64_e32 vcc_lo, s[10:11], v[2:3]
	s_cbranch_vccnz .LBB0_3870
; %bb.3871:                             ;   in Loop: Header=BB0_2003 Depth=1
	s_add_co_i32 s10, s8, 0x3a6
	s_mov_b32 s11, s9
	s_delay_alu instid0(SALU_CYCLE_1)
	v_mov_b64_e32 v[2:3], s[10:11]
	s_wait_xcnt 0x0
	global_store_b64 v0, v[2:3], s[6:7] scope:SCOPE_SYS
.LBB0_3872:                             ;   Parent Loop BB0_2003 Depth=1
                                        ; =>  This Inner Loop Header: Depth=2
	global_load_b64 v[2:3], v0, s[4:5] scope:SCOPE_SYS
	s_wait_loadcnt 0x0
	v_cmp_ne_u64_e32 vcc_lo, s[10:11], v[2:3]
	s_cbranch_vccnz .LBB0_3872
; %bb.3873:                             ;   in Loop: Header=BB0_2003 Depth=1
	s_add_co_i32 s10, s8, 0x3a7
	s_mov_b32 s11, s9
	s_delay_alu instid0(SALU_CYCLE_1)
	v_mov_b64_e32 v[2:3], s[10:11]
	s_wait_xcnt 0x0
	global_store_b64 v0, v[2:3], s[6:7] scope:SCOPE_SYS
.LBB0_3874:                             ;   Parent Loop BB0_2003 Depth=1
                                        ; =>  This Inner Loop Header: Depth=2
	global_load_b64 v[2:3], v0, s[4:5] scope:SCOPE_SYS
	s_wait_loadcnt 0x0
	v_cmp_ne_u64_e32 vcc_lo, s[10:11], v[2:3]
	s_cbranch_vccnz .LBB0_3874
; %bb.3875:                             ;   in Loop: Header=BB0_2003 Depth=1
	s_add_co_i32 s10, s8, 0x3a8
	s_mov_b32 s11, s9
	s_delay_alu instid0(SALU_CYCLE_1)
	v_mov_b64_e32 v[2:3], s[10:11]
	s_wait_xcnt 0x0
	global_store_b64 v0, v[2:3], s[6:7] scope:SCOPE_SYS
.LBB0_3876:                             ;   Parent Loop BB0_2003 Depth=1
                                        ; =>  This Inner Loop Header: Depth=2
	global_load_b64 v[2:3], v0, s[4:5] scope:SCOPE_SYS
	s_wait_loadcnt 0x0
	v_cmp_ne_u64_e32 vcc_lo, s[10:11], v[2:3]
	s_cbranch_vccnz .LBB0_3876
; %bb.3877:                             ;   in Loop: Header=BB0_2003 Depth=1
	s_add_co_i32 s10, s8, 0x3a9
	s_mov_b32 s11, s9
	s_delay_alu instid0(SALU_CYCLE_1)
	v_mov_b64_e32 v[2:3], s[10:11]
	s_wait_xcnt 0x0
	global_store_b64 v0, v[2:3], s[6:7] scope:SCOPE_SYS
.LBB0_3878:                             ;   Parent Loop BB0_2003 Depth=1
                                        ; =>  This Inner Loop Header: Depth=2
	global_load_b64 v[2:3], v0, s[4:5] scope:SCOPE_SYS
	s_wait_loadcnt 0x0
	v_cmp_ne_u64_e32 vcc_lo, s[10:11], v[2:3]
	s_cbranch_vccnz .LBB0_3878
; %bb.3879:                             ;   in Loop: Header=BB0_2003 Depth=1
	s_add_co_i32 s10, s8, 0x3aa
	s_mov_b32 s11, s9
	s_delay_alu instid0(SALU_CYCLE_1)
	v_mov_b64_e32 v[2:3], s[10:11]
	s_wait_xcnt 0x0
	global_store_b64 v0, v[2:3], s[6:7] scope:SCOPE_SYS
.LBB0_3880:                             ;   Parent Loop BB0_2003 Depth=1
                                        ; =>  This Inner Loop Header: Depth=2
	global_load_b64 v[2:3], v0, s[4:5] scope:SCOPE_SYS
	s_wait_loadcnt 0x0
	v_cmp_ne_u64_e32 vcc_lo, s[10:11], v[2:3]
	s_cbranch_vccnz .LBB0_3880
; %bb.3881:                             ;   in Loop: Header=BB0_2003 Depth=1
	s_add_co_i32 s10, s8, 0x3ab
	s_mov_b32 s11, s9
	s_delay_alu instid0(SALU_CYCLE_1)
	v_mov_b64_e32 v[2:3], s[10:11]
	s_wait_xcnt 0x0
	global_store_b64 v0, v[2:3], s[6:7] scope:SCOPE_SYS
.LBB0_3882:                             ;   Parent Loop BB0_2003 Depth=1
                                        ; =>  This Inner Loop Header: Depth=2
	global_load_b64 v[2:3], v0, s[4:5] scope:SCOPE_SYS
	s_wait_loadcnt 0x0
	v_cmp_ne_u64_e32 vcc_lo, s[10:11], v[2:3]
	s_cbranch_vccnz .LBB0_3882
; %bb.3883:                             ;   in Loop: Header=BB0_2003 Depth=1
	s_add_co_i32 s10, s8, 0x3ac
	s_mov_b32 s11, s9
	s_delay_alu instid0(SALU_CYCLE_1)
	v_mov_b64_e32 v[2:3], s[10:11]
	s_wait_xcnt 0x0
	global_store_b64 v0, v[2:3], s[6:7] scope:SCOPE_SYS
.LBB0_3884:                             ;   Parent Loop BB0_2003 Depth=1
                                        ; =>  This Inner Loop Header: Depth=2
	global_load_b64 v[2:3], v0, s[4:5] scope:SCOPE_SYS
	s_wait_loadcnt 0x0
	v_cmp_ne_u64_e32 vcc_lo, s[10:11], v[2:3]
	s_cbranch_vccnz .LBB0_3884
; %bb.3885:                             ;   in Loop: Header=BB0_2003 Depth=1
	s_add_co_i32 s10, s8, 0x3ad
	s_mov_b32 s11, s9
	s_delay_alu instid0(SALU_CYCLE_1)
	v_mov_b64_e32 v[2:3], s[10:11]
	s_wait_xcnt 0x0
	global_store_b64 v0, v[2:3], s[6:7] scope:SCOPE_SYS
.LBB0_3886:                             ;   Parent Loop BB0_2003 Depth=1
                                        ; =>  This Inner Loop Header: Depth=2
	global_load_b64 v[2:3], v0, s[4:5] scope:SCOPE_SYS
	s_wait_loadcnt 0x0
	v_cmp_ne_u64_e32 vcc_lo, s[10:11], v[2:3]
	s_cbranch_vccnz .LBB0_3886
; %bb.3887:                             ;   in Loop: Header=BB0_2003 Depth=1
	s_add_co_i32 s10, s8, 0x3ae
	s_mov_b32 s11, s9
	s_delay_alu instid0(SALU_CYCLE_1)
	v_mov_b64_e32 v[2:3], s[10:11]
	s_wait_xcnt 0x0
	global_store_b64 v0, v[2:3], s[6:7] scope:SCOPE_SYS
.LBB0_3888:                             ;   Parent Loop BB0_2003 Depth=1
                                        ; =>  This Inner Loop Header: Depth=2
	global_load_b64 v[2:3], v0, s[4:5] scope:SCOPE_SYS
	s_wait_loadcnt 0x0
	v_cmp_ne_u64_e32 vcc_lo, s[10:11], v[2:3]
	s_cbranch_vccnz .LBB0_3888
; %bb.3889:                             ;   in Loop: Header=BB0_2003 Depth=1
	s_add_co_i32 s10, s8, 0x3af
	s_mov_b32 s11, s9
	s_delay_alu instid0(SALU_CYCLE_1)
	v_mov_b64_e32 v[2:3], s[10:11]
	s_wait_xcnt 0x0
	global_store_b64 v0, v[2:3], s[6:7] scope:SCOPE_SYS
.LBB0_3890:                             ;   Parent Loop BB0_2003 Depth=1
                                        ; =>  This Inner Loop Header: Depth=2
	global_load_b64 v[2:3], v0, s[4:5] scope:SCOPE_SYS
	s_wait_loadcnt 0x0
	v_cmp_ne_u64_e32 vcc_lo, s[10:11], v[2:3]
	s_cbranch_vccnz .LBB0_3890
; %bb.3891:                             ;   in Loop: Header=BB0_2003 Depth=1
	s_add_co_i32 s10, s8, 0x3b0
	s_mov_b32 s11, s9
	s_delay_alu instid0(SALU_CYCLE_1)
	v_mov_b64_e32 v[2:3], s[10:11]
	s_wait_xcnt 0x0
	global_store_b64 v0, v[2:3], s[6:7] scope:SCOPE_SYS
.LBB0_3892:                             ;   Parent Loop BB0_2003 Depth=1
                                        ; =>  This Inner Loop Header: Depth=2
	global_load_b64 v[2:3], v0, s[4:5] scope:SCOPE_SYS
	s_wait_loadcnt 0x0
	v_cmp_ne_u64_e32 vcc_lo, s[10:11], v[2:3]
	s_cbranch_vccnz .LBB0_3892
; %bb.3893:                             ;   in Loop: Header=BB0_2003 Depth=1
	s_add_co_i32 s10, s8, 0x3b1
	s_mov_b32 s11, s9
	s_delay_alu instid0(SALU_CYCLE_1)
	v_mov_b64_e32 v[2:3], s[10:11]
	s_wait_xcnt 0x0
	global_store_b64 v0, v[2:3], s[6:7] scope:SCOPE_SYS
.LBB0_3894:                             ;   Parent Loop BB0_2003 Depth=1
                                        ; =>  This Inner Loop Header: Depth=2
	global_load_b64 v[2:3], v0, s[4:5] scope:SCOPE_SYS
	s_wait_loadcnt 0x0
	v_cmp_ne_u64_e32 vcc_lo, s[10:11], v[2:3]
	s_cbranch_vccnz .LBB0_3894
; %bb.3895:                             ;   in Loop: Header=BB0_2003 Depth=1
	s_add_co_i32 s10, s8, 0x3b2
	s_mov_b32 s11, s9
	s_delay_alu instid0(SALU_CYCLE_1)
	v_mov_b64_e32 v[2:3], s[10:11]
	s_wait_xcnt 0x0
	global_store_b64 v0, v[2:3], s[6:7] scope:SCOPE_SYS
.LBB0_3896:                             ;   Parent Loop BB0_2003 Depth=1
                                        ; =>  This Inner Loop Header: Depth=2
	global_load_b64 v[2:3], v0, s[4:5] scope:SCOPE_SYS
	s_wait_loadcnt 0x0
	v_cmp_ne_u64_e32 vcc_lo, s[10:11], v[2:3]
	s_cbranch_vccnz .LBB0_3896
; %bb.3897:                             ;   in Loop: Header=BB0_2003 Depth=1
	s_add_co_i32 s10, s8, 0x3b3
	s_mov_b32 s11, s9
	s_delay_alu instid0(SALU_CYCLE_1)
	v_mov_b64_e32 v[2:3], s[10:11]
	s_wait_xcnt 0x0
	global_store_b64 v0, v[2:3], s[6:7] scope:SCOPE_SYS
.LBB0_3898:                             ;   Parent Loop BB0_2003 Depth=1
                                        ; =>  This Inner Loop Header: Depth=2
	global_load_b64 v[2:3], v0, s[4:5] scope:SCOPE_SYS
	s_wait_loadcnt 0x0
	v_cmp_ne_u64_e32 vcc_lo, s[10:11], v[2:3]
	s_cbranch_vccnz .LBB0_3898
; %bb.3899:                             ;   in Loop: Header=BB0_2003 Depth=1
	s_add_co_i32 s10, s8, 0x3b4
	s_mov_b32 s11, s9
	s_delay_alu instid0(SALU_CYCLE_1)
	v_mov_b64_e32 v[2:3], s[10:11]
	s_wait_xcnt 0x0
	global_store_b64 v0, v[2:3], s[6:7] scope:SCOPE_SYS
.LBB0_3900:                             ;   Parent Loop BB0_2003 Depth=1
                                        ; =>  This Inner Loop Header: Depth=2
	global_load_b64 v[2:3], v0, s[4:5] scope:SCOPE_SYS
	s_wait_loadcnt 0x0
	v_cmp_ne_u64_e32 vcc_lo, s[10:11], v[2:3]
	s_cbranch_vccnz .LBB0_3900
; %bb.3901:                             ;   in Loop: Header=BB0_2003 Depth=1
	s_add_co_i32 s10, s8, 0x3b5
	s_mov_b32 s11, s9
	s_delay_alu instid0(SALU_CYCLE_1)
	v_mov_b64_e32 v[2:3], s[10:11]
	s_wait_xcnt 0x0
	global_store_b64 v0, v[2:3], s[6:7] scope:SCOPE_SYS
.LBB0_3902:                             ;   Parent Loop BB0_2003 Depth=1
                                        ; =>  This Inner Loop Header: Depth=2
	global_load_b64 v[2:3], v0, s[4:5] scope:SCOPE_SYS
	s_wait_loadcnt 0x0
	v_cmp_ne_u64_e32 vcc_lo, s[10:11], v[2:3]
	s_cbranch_vccnz .LBB0_3902
; %bb.3903:                             ;   in Loop: Header=BB0_2003 Depth=1
	s_add_co_i32 s10, s8, 0x3b6
	s_mov_b32 s11, s9
	s_delay_alu instid0(SALU_CYCLE_1)
	v_mov_b64_e32 v[2:3], s[10:11]
	s_wait_xcnt 0x0
	global_store_b64 v0, v[2:3], s[6:7] scope:SCOPE_SYS
.LBB0_3904:                             ;   Parent Loop BB0_2003 Depth=1
                                        ; =>  This Inner Loop Header: Depth=2
	global_load_b64 v[2:3], v0, s[4:5] scope:SCOPE_SYS
	s_wait_loadcnt 0x0
	v_cmp_ne_u64_e32 vcc_lo, s[10:11], v[2:3]
	s_cbranch_vccnz .LBB0_3904
; %bb.3905:                             ;   in Loop: Header=BB0_2003 Depth=1
	s_add_co_i32 s10, s8, 0x3b7
	s_mov_b32 s11, s9
	s_delay_alu instid0(SALU_CYCLE_1)
	v_mov_b64_e32 v[2:3], s[10:11]
	s_wait_xcnt 0x0
	global_store_b64 v0, v[2:3], s[6:7] scope:SCOPE_SYS
.LBB0_3906:                             ;   Parent Loop BB0_2003 Depth=1
                                        ; =>  This Inner Loop Header: Depth=2
	global_load_b64 v[2:3], v0, s[4:5] scope:SCOPE_SYS
	s_wait_loadcnt 0x0
	v_cmp_ne_u64_e32 vcc_lo, s[10:11], v[2:3]
	s_cbranch_vccnz .LBB0_3906
; %bb.3907:                             ;   in Loop: Header=BB0_2003 Depth=1
	s_add_co_i32 s10, s8, 0x3b8
	s_mov_b32 s11, s9
	s_delay_alu instid0(SALU_CYCLE_1)
	v_mov_b64_e32 v[2:3], s[10:11]
	s_wait_xcnt 0x0
	global_store_b64 v0, v[2:3], s[6:7] scope:SCOPE_SYS
.LBB0_3908:                             ;   Parent Loop BB0_2003 Depth=1
                                        ; =>  This Inner Loop Header: Depth=2
	global_load_b64 v[2:3], v0, s[4:5] scope:SCOPE_SYS
	s_wait_loadcnt 0x0
	v_cmp_ne_u64_e32 vcc_lo, s[10:11], v[2:3]
	s_cbranch_vccnz .LBB0_3908
; %bb.3909:                             ;   in Loop: Header=BB0_2003 Depth=1
	s_add_co_i32 s10, s8, 0x3b9
	s_mov_b32 s11, s9
	s_delay_alu instid0(SALU_CYCLE_1)
	v_mov_b64_e32 v[2:3], s[10:11]
	s_wait_xcnt 0x0
	global_store_b64 v0, v[2:3], s[6:7] scope:SCOPE_SYS
.LBB0_3910:                             ;   Parent Loop BB0_2003 Depth=1
                                        ; =>  This Inner Loop Header: Depth=2
	global_load_b64 v[2:3], v0, s[4:5] scope:SCOPE_SYS
	s_wait_loadcnt 0x0
	v_cmp_ne_u64_e32 vcc_lo, s[10:11], v[2:3]
	s_cbranch_vccnz .LBB0_3910
; %bb.3911:                             ;   in Loop: Header=BB0_2003 Depth=1
	s_add_co_i32 s10, s8, 0x3ba
	s_mov_b32 s11, s9
	s_delay_alu instid0(SALU_CYCLE_1)
	v_mov_b64_e32 v[2:3], s[10:11]
	s_wait_xcnt 0x0
	global_store_b64 v0, v[2:3], s[6:7] scope:SCOPE_SYS
.LBB0_3912:                             ;   Parent Loop BB0_2003 Depth=1
                                        ; =>  This Inner Loop Header: Depth=2
	global_load_b64 v[2:3], v0, s[4:5] scope:SCOPE_SYS
	s_wait_loadcnt 0x0
	v_cmp_ne_u64_e32 vcc_lo, s[10:11], v[2:3]
	s_cbranch_vccnz .LBB0_3912
; %bb.3913:                             ;   in Loop: Header=BB0_2003 Depth=1
	s_add_co_i32 s10, s8, 0x3bb
	s_mov_b32 s11, s9
	s_delay_alu instid0(SALU_CYCLE_1)
	v_mov_b64_e32 v[2:3], s[10:11]
	s_wait_xcnt 0x0
	global_store_b64 v0, v[2:3], s[6:7] scope:SCOPE_SYS
.LBB0_3914:                             ;   Parent Loop BB0_2003 Depth=1
                                        ; =>  This Inner Loop Header: Depth=2
	global_load_b64 v[2:3], v0, s[4:5] scope:SCOPE_SYS
	s_wait_loadcnt 0x0
	v_cmp_ne_u64_e32 vcc_lo, s[10:11], v[2:3]
	s_cbranch_vccnz .LBB0_3914
; %bb.3915:                             ;   in Loop: Header=BB0_2003 Depth=1
	s_add_co_i32 s10, s8, 0x3bc
	s_mov_b32 s11, s9
	s_delay_alu instid0(SALU_CYCLE_1)
	v_mov_b64_e32 v[2:3], s[10:11]
	s_wait_xcnt 0x0
	global_store_b64 v0, v[2:3], s[6:7] scope:SCOPE_SYS
.LBB0_3916:                             ;   Parent Loop BB0_2003 Depth=1
                                        ; =>  This Inner Loop Header: Depth=2
	global_load_b64 v[2:3], v0, s[4:5] scope:SCOPE_SYS
	s_wait_loadcnt 0x0
	v_cmp_ne_u64_e32 vcc_lo, s[10:11], v[2:3]
	s_cbranch_vccnz .LBB0_3916
; %bb.3917:                             ;   in Loop: Header=BB0_2003 Depth=1
	s_add_co_i32 s10, s8, 0x3bd
	s_mov_b32 s11, s9
	s_delay_alu instid0(SALU_CYCLE_1)
	v_mov_b64_e32 v[2:3], s[10:11]
	s_wait_xcnt 0x0
	global_store_b64 v0, v[2:3], s[6:7] scope:SCOPE_SYS
.LBB0_3918:                             ;   Parent Loop BB0_2003 Depth=1
                                        ; =>  This Inner Loop Header: Depth=2
	global_load_b64 v[2:3], v0, s[4:5] scope:SCOPE_SYS
	s_wait_loadcnt 0x0
	v_cmp_ne_u64_e32 vcc_lo, s[10:11], v[2:3]
	s_cbranch_vccnz .LBB0_3918
; %bb.3919:                             ;   in Loop: Header=BB0_2003 Depth=1
	s_add_co_i32 s10, s8, 0x3be
	s_mov_b32 s11, s9
	s_delay_alu instid0(SALU_CYCLE_1)
	v_mov_b64_e32 v[2:3], s[10:11]
	s_wait_xcnt 0x0
	global_store_b64 v0, v[2:3], s[6:7] scope:SCOPE_SYS
.LBB0_3920:                             ;   Parent Loop BB0_2003 Depth=1
                                        ; =>  This Inner Loop Header: Depth=2
	global_load_b64 v[2:3], v0, s[4:5] scope:SCOPE_SYS
	s_wait_loadcnt 0x0
	v_cmp_ne_u64_e32 vcc_lo, s[10:11], v[2:3]
	s_cbranch_vccnz .LBB0_3920
; %bb.3921:                             ;   in Loop: Header=BB0_2003 Depth=1
	s_add_co_i32 s10, s8, 0x3bf
	s_mov_b32 s11, s9
	s_delay_alu instid0(SALU_CYCLE_1)
	v_mov_b64_e32 v[2:3], s[10:11]
	s_wait_xcnt 0x0
	global_store_b64 v0, v[2:3], s[6:7] scope:SCOPE_SYS
.LBB0_3922:                             ;   Parent Loop BB0_2003 Depth=1
                                        ; =>  This Inner Loop Header: Depth=2
	global_load_b64 v[2:3], v0, s[4:5] scope:SCOPE_SYS
	s_wait_loadcnt 0x0
	v_cmp_ne_u64_e32 vcc_lo, s[10:11], v[2:3]
	s_cbranch_vccnz .LBB0_3922
; %bb.3923:                             ;   in Loop: Header=BB0_2003 Depth=1
	s_add_co_i32 s10, s8, 0x3c0
	s_mov_b32 s11, s9
	s_delay_alu instid0(SALU_CYCLE_1)
	v_mov_b64_e32 v[2:3], s[10:11]
	s_wait_xcnt 0x0
	global_store_b64 v0, v[2:3], s[6:7] scope:SCOPE_SYS
.LBB0_3924:                             ;   Parent Loop BB0_2003 Depth=1
                                        ; =>  This Inner Loop Header: Depth=2
	global_load_b64 v[2:3], v0, s[4:5] scope:SCOPE_SYS
	s_wait_loadcnt 0x0
	v_cmp_ne_u64_e32 vcc_lo, s[10:11], v[2:3]
	s_cbranch_vccnz .LBB0_3924
; %bb.3925:                             ;   in Loop: Header=BB0_2003 Depth=1
	s_add_co_i32 s10, s8, 0x3c1
	s_mov_b32 s11, s9
	s_delay_alu instid0(SALU_CYCLE_1)
	v_mov_b64_e32 v[2:3], s[10:11]
	s_wait_xcnt 0x0
	global_store_b64 v0, v[2:3], s[6:7] scope:SCOPE_SYS
.LBB0_3926:                             ;   Parent Loop BB0_2003 Depth=1
                                        ; =>  This Inner Loop Header: Depth=2
	global_load_b64 v[2:3], v0, s[4:5] scope:SCOPE_SYS
	s_wait_loadcnt 0x0
	v_cmp_ne_u64_e32 vcc_lo, s[10:11], v[2:3]
	s_cbranch_vccnz .LBB0_3926
; %bb.3927:                             ;   in Loop: Header=BB0_2003 Depth=1
	s_add_co_i32 s10, s8, 0x3c2
	s_mov_b32 s11, s9
	s_delay_alu instid0(SALU_CYCLE_1)
	v_mov_b64_e32 v[2:3], s[10:11]
	s_wait_xcnt 0x0
	global_store_b64 v0, v[2:3], s[6:7] scope:SCOPE_SYS
.LBB0_3928:                             ;   Parent Loop BB0_2003 Depth=1
                                        ; =>  This Inner Loop Header: Depth=2
	global_load_b64 v[2:3], v0, s[4:5] scope:SCOPE_SYS
	s_wait_loadcnt 0x0
	v_cmp_ne_u64_e32 vcc_lo, s[10:11], v[2:3]
	s_cbranch_vccnz .LBB0_3928
; %bb.3929:                             ;   in Loop: Header=BB0_2003 Depth=1
	s_add_co_i32 s10, s8, 0x3c3
	s_mov_b32 s11, s9
	s_delay_alu instid0(SALU_CYCLE_1)
	v_mov_b64_e32 v[2:3], s[10:11]
	s_wait_xcnt 0x0
	global_store_b64 v0, v[2:3], s[6:7] scope:SCOPE_SYS
.LBB0_3930:                             ;   Parent Loop BB0_2003 Depth=1
                                        ; =>  This Inner Loop Header: Depth=2
	global_load_b64 v[2:3], v0, s[4:5] scope:SCOPE_SYS
	s_wait_loadcnt 0x0
	v_cmp_ne_u64_e32 vcc_lo, s[10:11], v[2:3]
	s_cbranch_vccnz .LBB0_3930
; %bb.3931:                             ;   in Loop: Header=BB0_2003 Depth=1
	s_add_co_i32 s10, s8, 0x3c4
	s_mov_b32 s11, s9
	s_delay_alu instid0(SALU_CYCLE_1)
	v_mov_b64_e32 v[2:3], s[10:11]
	s_wait_xcnt 0x0
	global_store_b64 v0, v[2:3], s[6:7] scope:SCOPE_SYS
.LBB0_3932:                             ;   Parent Loop BB0_2003 Depth=1
                                        ; =>  This Inner Loop Header: Depth=2
	global_load_b64 v[2:3], v0, s[4:5] scope:SCOPE_SYS
	s_wait_loadcnt 0x0
	v_cmp_ne_u64_e32 vcc_lo, s[10:11], v[2:3]
	s_cbranch_vccnz .LBB0_3932
; %bb.3933:                             ;   in Loop: Header=BB0_2003 Depth=1
	s_add_co_i32 s10, s8, 0x3c5
	s_mov_b32 s11, s9
	s_delay_alu instid0(SALU_CYCLE_1)
	v_mov_b64_e32 v[2:3], s[10:11]
	s_wait_xcnt 0x0
	global_store_b64 v0, v[2:3], s[6:7] scope:SCOPE_SYS
.LBB0_3934:                             ;   Parent Loop BB0_2003 Depth=1
                                        ; =>  This Inner Loop Header: Depth=2
	global_load_b64 v[2:3], v0, s[4:5] scope:SCOPE_SYS
	s_wait_loadcnt 0x0
	v_cmp_ne_u64_e32 vcc_lo, s[10:11], v[2:3]
	s_cbranch_vccnz .LBB0_3934
; %bb.3935:                             ;   in Loop: Header=BB0_2003 Depth=1
	s_add_co_i32 s10, s8, 0x3c6
	s_mov_b32 s11, s9
	s_delay_alu instid0(SALU_CYCLE_1)
	v_mov_b64_e32 v[2:3], s[10:11]
	s_wait_xcnt 0x0
	global_store_b64 v0, v[2:3], s[6:7] scope:SCOPE_SYS
.LBB0_3936:                             ;   Parent Loop BB0_2003 Depth=1
                                        ; =>  This Inner Loop Header: Depth=2
	global_load_b64 v[2:3], v0, s[4:5] scope:SCOPE_SYS
	s_wait_loadcnt 0x0
	v_cmp_ne_u64_e32 vcc_lo, s[10:11], v[2:3]
	s_cbranch_vccnz .LBB0_3936
; %bb.3937:                             ;   in Loop: Header=BB0_2003 Depth=1
	s_add_co_i32 s10, s8, 0x3c7
	s_mov_b32 s11, s9
	s_delay_alu instid0(SALU_CYCLE_1)
	v_mov_b64_e32 v[2:3], s[10:11]
	s_wait_xcnt 0x0
	global_store_b64 v0, v[2:3], s[6:7] scope:SCOPE_SYS
.LBB0_3938:                             ;   Parent Loop BB0_2003 Depth=1
                                        ; =>  This Inner Loop Header: Depth=2
	global_load_b64 v[2:3], v0, s[4:5] scope:SCOPE_SYS
	s_wait_loadcnt 0x0
	v_cmp_ne_u64_e32 vcc_lo, s[10:11], v[2:3]
	s_cbranch_vccnz .LBB0_3938
; %bb.3939:                             ;   in Loop: Header=BB0_2003 Depth=1
	s_add_co_i32 s10, s8, 0x3c8
	s_mov_b32 s11, s9
	s_delay_alu instid0(SALU_CYCLE_1)
	v_mov_b64_e32 v[2:3], s[10:11]
	s_wait_xcnt 0x0
	global_store_b64 v0, v[2:3], s[6:7] scope:SCOPE_SYS
.LBB0_3940:                             ;   Parent Loop BB0_2003 Depth=1
                                        ; =>  This Inner Loop Header: Depth=2
	global_load_b64 v[2:3], v0, s[4:5] scope:SCOPE_SYS
	s_wait_loadcnt 0x0
	v_cmp_ne_u64_e32 vcc_lo, s[10:11], v[2:3]
	s_cbranch_vccnz .LBB0_3940
; %bb.3941:                             ;   in Loop: Header=BB0_2003 Depth=1
	s_add_co_i32 s10, s8, 0x3c9
	s_mov_b32 s11, s9
	s_delay_alu instid0(SALU_CYCLE_1)
	v_mov_b64_e32 v[2:3], s[10:11]
	s_wait_xcnt 0x0
	global_store_b64 v0, v[2:3], s[6:7] scope:SCOPE_SYS
.LBB0_3942:                             ;   Parent Loop BB0_2003 Depth=1
                                        ; =>  This Inner Loop Header: Depth=2
	global_load_b64 v[2:3], v0, s[4:5] scope:SCOPE_SYS
	s_wait_loadcnt 0x0
	v_cmp_ne_u64_e32 vcc_lo, s[10:11], v[2:3]
	s_cbranch_vccnz .LBB0_3942
; %bb.3943:                             ;   in Loop: Header=BB0_2003 Depth=1
	s_add_co_i32 s10, s8, 0x3ca
	s_mov_b32 s11, s9
	s_delay_alu instid0(SALU_CYCLE_1)
	v_mov_b64_e32 v[2:3], s[10:11]
	s_wait_xcnt 0x0
	global_store_b64 v0, v[2:3], s[6:7] scope:SCOPE_SYS
.LBB0_3944:                             ;   Parent Loop BB0_2003 Depth=1
                                        ; =>  This Inner Loop Header: Depth=2
	global_load_b64 v[2:3], v0, s[4:5] scope:SCOPE_SYS
	s_wait_loadcnt 0x0
	v_cmp_ne_u64_e32 vcc_lo, s[10:11], v[2:3]
	s_cbranch_vccnz .LBB0_3944
; %bb.3945:                             ;   in Loop: Header=BB0_2003 Depth=1
	s_add_co_i32 s10, s8, 0x3cb
	s_mov_b32 s11, s9
	s_delay_alu instid0(SALU_CYCLE_1)
	v_mov_b64_e32 v[2:3], s[10:11]
	s_wait_xcnt 0x0
	global_store_b64 v0, v[2:3], s[6:7] scope:SCOPE_SYS
.LBB0_3946:                             ;   Parent Loop BB0_2003 Depth=1
                                        ; =>  This Inner Loop Header: Depth=2
	global_load_b64 v[2:3], v0, s[4:5] scope:SCOPE_SYS
	s_wait_loadcnt 0x0
	v_cmp_ne_u64_e32 vcc_lo, s[10:11], v[2:3]
	s_cbranch_vccnz .LBB0_3946
; %bb.3947:                             ;   in Loop: Header=BB0_2003 Depth=1
	s_add_co_i32 s10, s8, 0x3cc
	s_mov_b32 s11, s9
	s_delay_alu instid0(SALU_CYCLE_1)
	v_mov_b64_e32 v[2:3], s[10:11]
	s_wait_xcnt 0x0
	global_store_b64 v0, v[2:3], s[6:7] scope:SCOPE_SYS
.LBB0_3948:                             ;   Parent Loop BB0_2003 Depth=1
                                        ; =>  This Inner Loop Header: Depth=2
	global_load_b64 v[2:3], v0, s[4:5] scope:SCOPE_SYS
	s_wait_loadcnt 0x0
	v_cmp_ne_u64_e32 vcc_lo, s[10:11], v[2:3]
	s_cbranch_vccnz .LBB0_3948
; %bb.3949:                             ;   in Loop: Header=BB0_2003 Depth=1
	s_add_co_i32 s10, s8, 0x3cd
	s_mov_b32 s11, s9
	s_delay_alu instid0(SALU_CYCLE_1)
	v_mov_b64_e32 v[2:3], s[10:11]
	s_wait_xcnt 0x0
	global_store_b64 v0, v[2:3], s[6:7] scope:SCOPE_SYS
.LBB0_3950:                             ;   Parent Loop BB0_2003 Depth=1
                                        ; =>  This Inner Loop Header: Depth=2
	global_load_b64 v[2:3], v0, s[4:5] scope:SCOPE_SYS
	s_wait_loadcnt 0x0
	v_cmp_ne_u64_e32 vcc_lo, s[10:11], v[2:3]
	s_cbranch_vccnz .LBB0_3950
; %bb.3951:                             ;   in Loop: Header=BB0_2003 Depth=1
	s_add_co_i32 s10, s8, 0x3ce
	s_mov_b32 s11, s9
	s_delay_alu instid0(SALU_CYCLE_1)
	v_mov_b64_e32 v[2:3], s[10:11]
	s_wait_xcnt 0x0
	global_store_b64 v0, v[2:3], s[6:7] scope:SCOPE_SYS
.LBB0_3952:                             ;   Parent Loop BB0_2003 Depth=1
                                        ; =>  This Inner Loop Header: Depth=2
	global_load_b64 v[2:3], v0, s[4:5] scope:SCOPE_SYS
	s_wait_loadcnt 0x0
	v_cmp_ne_u64_e32 vcc_lo, s[10:11], v[2:3]
	s_cbranch_vccnz .LBB0_3952
; %bb.3953:                             ;   in Loop: Header=BB0_2003 Depth=1
	s_add_co_i32 s10, s8, 0x3cf
	s_mov_b32 s11, s9
	s_delay_alu instid0(SALU_CYCLE_1)
	v_mov_b64_e32 v[2:3], s[10:11]
	s_wait_xcnt 0x0
	global_store_b64 v0, v[2:3], s[6:7] scope:SCOPE_SYS
.LBB0_3954:                             ;   Parent Loop BB0_2003 Depth=1
                                        ; =>  This Inner Loop Header: Depth=2
	global_load_b64 v[2:3], v0, s[4:5] scope:SCOPE_SYS
	s_wait_loadcnt 0x0
	v_cmp_ne_u64_e32 vcc_lo, s[10:11], v[2:3]
	s_cbranch_vccnz .LBB0_3954
; %bb.3955:                             ;   in Loop: Header=BB0_2003 Depth=1
	s_add_co_i32 s10, s8, 0x3d0
	s_mov_b32 s11, s9
	s_delay_alu instid0(SALU_CYCLE_1)
	v_mov_b64_e32 v[2:3], s[10:11]
	s_wait_xcnt 0x0
	global_store_b64 v0, v[2:3], s[6:7] scope:SCOPE_SYS
.LBB0_3956:                             ;   Parent Loop BB0_2003 Depth=1
                                        ; =>  This Inner Loop Header: Depth=2
	global_load_b64 v[2:3], v0, s[4:5] scope:SCOPE_SYS
	s_wait_loadcnt 0x0
	v_cmp_ne_u64_e32 vcc_lo, s[10:11], v[2:3]
	s_cbranch_vccnz .LBB0_3956
; %bb.3957:                             ;   in Loop: Header=BB0_2003 Depth=1
	s_add_co_i32 s10, s8, 0x3d1
	s_mov_b32 s11, s9
	s_delay_alu instid0(SALU_CYCLE_1)
	v_mov_b64_e32 v[2:3], s[10:11]
	s_wait_xcnt 0x0
	global_store_b64 v0, v[2:3], s[6:7] scope:SCOPE_SYS
.LBB0_3958:                             ;   Parent Loop BB0_2003 Depth=1
                                        ; =>  This Inner Loop Header: Depth=2
	global_load_b64 v[2:3], v0, s[4:5] scope:SCOPE_SYS
	s_wait_loadcnt 0x0
	v_cmp_ne_u64_e32 vcc_lo, s[10:11], v[2:3]
	s_cbranch_vccnz .LBB0_3958
; %bb.3959:                             ;   in Loop: Header=BB0_2003 Depth=1
	s_add_co_i32 s10, s8, 0x3d2
	s_mov_b32 s11, s9
	s_delay_alu instid0(SALU_CYCLE_1)
	v_mov_b64_e32 v[2:3], s[10:11]
	s_wait_xcnt 0x0
	global_store_b64 v0, v[2:3], s[6:7] scope:SCOPE_SYS
.LBB0_3960:                             ;   Parent Loop BB0_2003 Depth=1
                                        ; =>  This Inner Loop Header: Depth=2
	global_load_b64 v[2:3], v0, s[4:5] scope:SCOPE_SYS
	s_wait_loadcnt 0x0
	v_cmp_ne_u64_e32 vcc_lo, s[10:11], v[2:3]
	s_cbranch_vccnz .LBB0_3960
; %bb.3961:                             ;   in Loop: Header=BB0_2003 Depth=1
	s_add_co_i32 s10, s8, 0x3d3
	s_mov_b32 s11, s9
	s_delay_alu instid0(SALU_CYCLE_1)
	v_mov_b64_e32 v[2:3], s[10:11]
	s_wait_xcnt 0x0
	global_store_b64 v0, v[2:3], s[6:7] scope:SCOPE_SYS
.LBB0_3962:                             ;   Parent Loop BB0_2003 Depth=1
                                        ; =>  This Inner Loop Header: Depth=2
	global_load_b64 v[2:3], v0, s[4:5] scope:SCOPE_SYS
	s_wait_loadcnt 0x0
	v_cmp_ne_u64_e32 vcc_lo, s[10:11], v[2:3]
	s_cbranch_vccnz .LBB0_3962
; %bb.3963:                             ;   in Loop: Header=BB0_2003 Depth=1
	s_add_co_i32 s10, s8, 0x3d4
	s_mov_b32 s11, s9
	s_delay_alu instid0(SALU_CYCLE_1)
	v_mov_b64_e32 v[2:3], s[10:11]
	s_wait_xcnt 0x0
	global_store_b64 v0, v[2:3], s[6:7] scope:SCOPE_SYS
.LBB0_3964:                             ;   Parent Loop BB0_2003 Depth=1
                                        ; =>  This Inner Loop Header: Depth=2
	global_load_b64 v[2:3], v0, s[4:5] scope:SCOPE_SYS
	s_wait_loadcnt 0x0
	v_cmp_ne_u64_e32 vcc_lo, s[10:11], v[2:3]
	s_cbranch_vccnz .LBB0_3964
; %bb.3965:                             ;   in Loop: Header=BB0_2003 Depth=1
	s_add_co_i32 s10, s8, 0x3d5
	s_mov_b32 s11, s9
	s_delay_alu instid0(SALU_CYCLE_1)
	v_mov_b64_e32 v[2:3], s[10:11]
	s_wait_xcnt 0x0
	global_store_b64 v0, v[2:3], s[6:7] scope:SCOPE_SYS
.LBB0_3966:                             ;   Parent Loop BB0_2003 Depth=1
                                        ; =>  This Inner Loop Header: Depth=2
	global_load_b64 v[2:3], v0, s[4:5] scope:SCOPE_SYS
	s_wait_loadcnt 0x0
	v_cmp_ne_u64_e32 vcc_lo, s[10:11], v[2:3]
	s_cbranch_vccnz .LBB0_3966
; %bb.3967:                             ;   in Loop: Header=BB0_2003 Depth=1
	s_add_co_i32 s10, s8, 0x3d6
	s_mov_b32 s11, s9
	s_delay_alu instid0(SALU_CYCLE_1)
	v_mov_b64_e32 v[2:3], s[10:11]
	s_wait_xcnt 0x0
	global_store_b64 v0, v[2:3], s[6:7] scope:SCOPE_SYS
.LBB0_3968:                             ;   Parent Loop BB0_2003 Depth=1
                                        ; =>  This Inner Loop Header: Depth=2
	global_load_b64 v[2:3], v0, s[4:5] scope:SCOPE_SYS
	s_wait_loadcnt 0x0
	v_cmp_ne_u64_e32 vcc_lo, s[10:11], v[2:3]
	s_cbranch_vccnz .LBB0_3968
; %bb.3969:                             ;   in Loop: Header=BB0_2003 Depth=1
	s_add_co_i32 s10, s8, 0x3d7
	s_mov_b32 s11, s9
	s_delay_alu instid0(SALU_CYCLE_1)
	v_mov_b64_e32 v[2:3], s[10:11]
	s_wait_xcnt 0x0
	global_store_b64 v0, v[2:3], s[6:7] scope:SCOPE_SYS
.LBB0_3970:                             ;   Parent Loop BB0_2003 Depth=1
                                        ; =>  This Inner Loop Header: Depth=2
	global_load_b64 v[2:3], v0, s[4:5] scope:SCOPE_SYS
	s_wait_loadcnt 0x0
	v_cmp_ne_u64_e32 vcc_lo, s[10:11], v[2:3]
	s_cbranch_vccnz .LBB0_3970
; %bb.3971:                             ;   in Loop: Header=BB0_2003 Depth=1
	s_add_co_i32 s10, s8, 0x3d8
	s_mov_b32 s11, s9
	s_delay_alu instid0(SALU_CYCLE_1)
	v_mov_b64_e32 v[2:3], s[10:11]
	s_wait_xcnt 0x0
	global_store_b64 v0, v[2:3], s[6:7] scope:SCOPE_SYS
.LBB0_3972:                             ;   Parent Loop BB0_2003 Depth=1
                                        ; =>  This Inner Loop Header: Depth=2
	global_load_b64 v[2:3], v0, s[4:5] scope:SCOPE_SYS
	s_wait_loadcnt 0x0
	v_cmp_ne_u64_e32 vcc_lo, s[10:11], v[2:3]
	s_cbranch_vccnz .LBB0_3972
; %bb.3973:                             ;   in Loop: Header=BB0_2003 Depth=1
	s_add_co_i32 s10, s8, 0x3d9
	s_mov_b32 s11, s9
	s_delay_alu instid0(SALU_CYCLE_1)
	v_mov_b64_e32 v[2:3], s[10:11]
	s_wait_xcnt 0x0
	global_store_b64 v0, v[2:3], s[6:7] scope:SCOPE_SYS
.LBB0_3974:                             ;   Parent Loop BB0_2003 Depth=1
                                        ; =>  This Inner Loop Header: Depth=2
	global_load_b64 v[2:3], v0, s[4:5] scope:SCOPE_SYS
	s_wait_loadcnt 0x0
	v_cmp_ne_u64_e32 vcc_lo, s[10:11], v[2:3]
	s_cbranch_vccnz .LBB0_3974
; %bb.3975:                             ;   in Loop: Header=BB0_2003 Depth=1
	s_add_co_i32 s10, s8, 0x3da
	s_mov_b32 s11, s9
	s_delay_alu instid0(SALU_CYCLE_1)
	v_mov_b64_e32 v[2:3], s[10:11]
	s_wait_xcnt 0x0
	global_store_b64 v0, v[2:3], s[6:7] scope:SCOPE_SYS
.LBB0_3976:                             ;   Parent Loop BB0_2003 Depth=1
                                        ; =>  This Inner Loop Header: Depth=2
	global_load_b64 v[2:3], v0, s[4:5] scope:SCOPE_SYS
	s_wait_loadcnt 0x0
	v_cmp_ne_u64_e32 vcc_lo, s[10:11], v[2:3]
	s_cbranch_vccnz .LBB0_3976
; %bb.3977:                             ;   in Loop: Header=BB0_2003 Depth=1
	s_add_co_i32 s10, s8, 0x3db
	s_mov_b32 s11, s9
	s_delay_alu instid0(SALU_CYCLE_1)
	v_mov_b64_e32 v[2:3], s[10:11]
	s_wait_xcnt 0x0
	global_store_b64 v0, v[2:3], s[6:7] scope:SCOPE_SYS
.LBB0_3978:                             ;   Parent Loop BB0_2003 Depth=1
                                        ; =>  This Inner Loop Header: Depth=2
	global_load_b64 v[2:3], v0, s[4:5] scope:SCOPE_SYS
	s_wait_loadcnt 0x0
	v_cmp_ne_u64_e32 vcc_lo, s[10:11], v[2:3]
	s_cbranch_vccnz .LBB0_3978
; %bb.3979:                             ;   in Loop: Header=BB0_2003 Depth=1
	s_add_co_i32 s10, s8, 0x3dc
	s_mov_b32 s11, s9
	s_delay_alu instid0(SALU_CYCLE_1)
	v_mov_b64_e32 v[2:3], s[10:11]
	s_wait_xcnt 0x0
	global_store_b64 v0, v[2:3], s[6:7] scope:SCOPE_SYS
.LBB0_3980:                             ;   Parent Loop BB0_2003 Depth=1
                                        ; =>  This Inner Loop Header: Depth=2
	global_load_b64 v[2:3], v0, s[4:5] scope:SCOPE_SYS
	s_wait_loadcnt 0x0
	v_cmp_ne_u64_e32 vcc_lo, s[10:11], v[2:3]
	s_cbranch_vccnz .LBB0_3980
; %bb.3981:                             ;   in Loop: Header=BB0_2003 Depth=1
	s_add_co_i32 s10, s8, 0x3dd
	s_mov_b32 s11, s9
	s_delay_alu instid0(SALU_CYCLE_1)
	v_mov_b64_e32 v[2:3], s[10:11]
	s_wait_xcnt 0x0
	global_store_b64 v0, v[2:3], s[6:7] scope:SCOPE_SYS
.LBB0_3982:                             ;   Parent Loop BB0_2003 Depth=1
                                        ; =>  This Inner Loop Header: Depth=2
	global_load_b64 v[2:3], v0, s[4:5] scope:SCOPE_SYS
	s_wait_loadcnt 0x0
	v_cmp_ne_u64_e32 vcc_lo, s[10:11], v[2:3]
	s_cbranch_vccnz .LBB0_3982
; %bb.3983:                             ;   in Loop: Header=BB0_2003 Depth=1
	s_add_co_i32 s10, s8, 0x3de
	s_mov_b32 s11, s9
	s_delay_alu instid0(SALU_CYCLE_1)
	v_mov_b64_e32 v[2:3], s[10:11]
	s_wait_xcnt 0x0
	global_store_b64 v0, v[2:3], s[6:7] scope:SCOPE_SYS
.LBB0_3984:                             ;   Parent Loop BB0_2003 Depth=1
                                        ; =>  This Inner Loop Header: Depth=2
	global_load_b64 v[2:3], v0, s[4:5] scope:SCOPE_SYS
	s_wait_loadcnt 0x0
	v_cmp_ne_u64_e32 vcc_lo, s[10:11], v[2:3]
	s_cbranch_vccnz .LBB0_3984
; %bb.3985:                             ;   in Loop: Header=BB0_2003 Depth=1
	s_add_co_i32 s10, s8, 0x3df
	s_mov_b32 s11, s9
	s_delay_alu instid0(SALU_CYCLE_1)
	v_mov_b64_e32 v[2:3], s[10:11]
	s_wait_xcnt 0x0
	global_store_b64 v0, v[2:3], s[6:7] scope:SCOPE_SYS
.LBB0_3986:                             ;   Parent Loop BB0_2003 Depth=1
                                        ; =>  This Inner Loop Header: Depth=2
	global_load_b64 v[2:3], v0, s[4:5] scope:SCOPE_SYS
	s_wait_loadcnt 0x0
	v_cmp_ne_u64_e32 vcc_lo, s[10:11], v[2:3]
	s_cbranch_vccnz .LBB0_3986
; %bb.3987:                             ;   in Loop: Header=BB0_2003 Depth=1
	s_add_co_i32 s10, s8, 0x3e0
	s_mov_b32 s11, s9
	s_delay_alu instid0(SALU_CYCLE_1)
	v_mov_b64_e32 v[2:3], s[10:11]
	s_wait_xcnt 0x0
	global_store_b64 v0, v[2:3], s[6:7] scope:SCOPE_SYS
.LBB0_3988:                             ;   Parent Loop BB0_2003 Depth=1
                                        ; =>  This Inner Loop Header: Depth=2
	global_load_b64 v[2:3], v0, s[4:5] scope:SCOPE_SYS
	s_wait_loadcnt 0x0
	v_cmp_ne_u64_e32 vcc_lo, s[10:11], v[2:3]
	s_cbranch_vccnz .LBB0_3988
; %bb.3989:                             ;   in Loop: Header=BB0_2003 Depth=1
	s_add_co_i32 s10, s8, 0x3e1
	s_mov_b32 s11, s9
	s_delay_alu instid0(SALU_CYCLE_1)
	v_mov_b64_e32 v[2:3], s[10:11]
	s_wait_xcnt 0x0
	global_store_b64 v0, v[2:3], s[6:7] scope:SCOPE_SYS
.LBB0_3990:                             ;   Parent Loop BB0_2003 Depth=1
                                        ; =>  This Inner Loop Header: Depth=2
	global_load_b64 v[2:3], v0, s[4:5] scope:SCOPE_SYS
	s_wait_loadcnt 0x0
	v_cmp_ne_u64_e32 vcc_lo, s[10:11], v[2:3]
	s_cbranch_vccnz .LBB0_3990
; %bb.3991:                             ;   in Loop: Header=BB0_2003 Depth=1
	s_add_co_i32 s10, s8, 0x3e2
	s_mov_b32 s11, s9
	s_delay_alu instid0(SALU_CYCLE_1)
	v_mov_b64_e32 v[2:3], s[10:11]
	s_wait_xcnt 0x0
	global_store_b64 v0, v[2:3], s[6:7] scope:SCOPE_SYS
.LBB0_3992:                             ;   Parent Loop BB0_2003 Depth=1
                                        ; =>  This Inner Loop Header: Depth=2
	global_load_b64 v[2:3], v0, s[4:5] scope:SCOPE_SYS
	s_wait_loadcnt 0x0
	v_cmp_ne_u64_e32 vcc_lo, s[10:11], v[2:3]
	s_cbranch_vccnz .LBB0_3992
; %bb.3993:                             ;   in Loop: Header=BB0_2003 Depth=1
	s_add_co_i32 s10, s8, 0x3e3
	s_mov_b32 s11, s9
	s_delay_alu instid0(SALU_CYCLE_1)
	v_mov_b64_e32 v[2:3], s[10:11]
	s_wait_xcnt 0x0
	global_store_b64 v0, v[2:3], s[6:7] scope:SCOPE_SYS
.LBB0_3994:                             ;   Parent Loop BB0_2003 Depth=1
                                        ; =>  This Inner Loop Header: Depth=2
	global_load_b64 v[2:3], v0, s[4:5] scope:SCOPE_SYS
	s_wait_loadcnt 0x0
	v_cmp_ne_u64_e32 vcc_lo, s[10:11], v[2:3]
	s_cbranch_vccnz .LBB0_3994
; %bb.3995:                             ;   in Loop: Header=BB0_2003 Depth=1
	s_add_co_i32 s10, s8, 0x3e4
	s_mov_b32 s11, s9
	s_delay_alu instid0(SALU_CYCLE_1)
	v_mov_b64_e32 v[2:3], s[10:11]
	s_wait_xcnt 0x0
	global_store_b64 v0, v[2:3], s[6:7] scope:SCOPE_SYS
.LBB0_3996:                             ;   Parent Loop BB0_2003 Depth=1
                                        ; =>  This Inner Loop Header: Depth=2
	global_load_b64 v[2:3], v0, s[4:5] scope:SCOPE_SYS
	s_wait_loadcnt 0x0
	v_cmp_ne_u64_e32 vcc_lo, s[10:11], v[2:3]
	s_cbranch_vccnz .LBB0_3996
; %bb.3997:                             ;   in Loop: Header=BB0_2003 Depth=1
	s_add_co_i32 s10, s8, 0x3e5
	s_mov_b32 s11, s9
	s_delay_alu instid0(SALU_CYCLE_1)
	v_mov_b64_e32 v[2:3], s[10:11]
	s_wait_xcnt 0x0
	global_store_b64 v0, v[2:3], s[6:7] scope:SCOPE_SYS
.LBB0_3998:                             ;   Parent Loop BB0_2003 Depth=1
                                        ; =>  This Inner Loop Header: Depth=2
	global_load_b64 v[2:3], v0, s[4:5] scope:SCOPE_SYS
	s_wait_loadcnt 0x0
	v_cmp_ne_u64_e32 vcc_lo, s[10:11], v[2:3]
	s_cbranch_vccnz .LBB0_3998
; %bb.3999:                             ;   in Loop: Header=BB0_2003 Depth=1
	s_add_co_i32 s10, s8, 0x3e6
	s_mov_b32 s11, s9
	s_delay_alu instid0(SALU_CYCLE_1)
	v_mov_b64_e32 v[2:3], s[10:11]
	s_wait_xcnt 0x0
	global_store_b64 v0, v[2:3], s[6:7] scope:SCOPE_SYS
.LBB0_4000:                             ;   Parent Loop BB0_2003 Depth=1
                                        ; =>  This Inner Loop Header: Depth=2
	global_load_b64 v[2:3], v0, s[4:5] scope:SCOPE_SYS
	s_wait_loadcnt 0x0
	v_cmp_ne_u64_e32 vcc_lo, s[10:11], v[2:3]
	s_cbranch_vccnz .LBB0_4000
; %bb.4001:                             ;   in Loop: Header=BB0_2003 Depth=1
	s_add_co_i32 s10, s8, 0x3e7
	s_mov_b32 s11, s9
	s_delay_alu instid0(SALU_CYCLE_1)
	v_mov_b64_e32 v[2:3], s[10:11]
	s_wait_xcnt 0x0
	global_store_b64 v0, v[2:3], s[6:7] scope:SCOPE_SYS
.LBB0_4002:                             ;   Parent Loop BB0_2003 Depth=1
                                        ; =>  This Inner Loop Header: Depth=2
	global_load_b64 v[2:3], v0, s[4:5] scope:SCOPE_SYS
	s_wait_loadcnt 0x0
	v_cmp_ne_u64_e32 vcc_lo, s[10:11], v[2:3]
	s_cbranch_vccnz .LBB0_4002
; %bb.4003:                             ;   in Loop: Header=BB0_2003 Depth=1
	s_add_co_i32 s10, s8, 0x3e8
	s_mov_b32 s11, s9
	s_delay_alu instid0(SALU_CYCLE_1)
	v_mov_b64_e32 v[2:3], s[10:11]
	s_wait_xcnt 0x0
	global_store_b64 v0, v[2:3], s[6:7] scope:SCOPE_SYS
.LBB0_4004:                             ;   Parent Loop BB0_2003 Depth=1
                                        ; =>  This Inner Loop Header: Depth=2
	global_load_b64 v[2:3], v0, s[4:5] scope:SCOPE_SYS
	s_wait_loadcnt 0x0
	v_cmp_ne_u64_e32 vcc_lo, s[10:11], v[2:3]
	s_cbranch_vccnz .LBB0_4004
; %bb.4005:                             ;   in Loop: Header=BB0_2003 Depth=1
	s_add_co_i32 s10, s8, 0x3e9
	s_mov_b32 s11, s9
	s_delay_alu instid0(SALU_CYCLE_1)
	v_mov_b64_e32 v[2:3], s[10:11]
	s_wait_xcnt 0x0
	global_store_b64 v0, v[2:3], s[6:7] scope:SCOPE_SYS
.LBB0_4006:                             ;   Parent Loop BB0_2003 Depth=1
                                        ; =>  This Inner Loop Header: Depth=2
	global_load_b64 v[2:3], v0, s[4:5] scope:SCOPE_SYS
	s_wait_loadcnt 0x0
	v_cmp_ne_u64_e32 vcc_lo, s[10:11], v[2:3]
	s_cbranch_vccnz .LBB0_4006
; %bb.4007:                             ;   in Loop: Header=BB0_2003 Depth=1
	s_add_co_i32 s10, s8, 0x3ea
	s_mov_b32 s11, s9
	s_delay_alu instid0(SALU_CYCLE_1)
	v_mov_b64_e32 v[2:3], s[10:11]
	s_wait_xcnt 0x0
	global_store_b64 v0, v[2:3], s[6:7] scope:SCOPE_SYS
.LBB0_4008:                             ;   Parent Loop BB0_2003 Depth=1
                                        ; =>  This Inner Loop Header: Depth=2
	global_load_b64 v[2:3], v0, s[4:5] scope:SCOPE_SYS
	s_wait_loadcnt 0x0
	v_cmp_ne_u64_e32 vcc_lo, s[10:11], v[2:3]
	s_cbranch_vccnz .LBB0_4008
; %bb.4009:                             ;   in Loop: Header=BB0_2003 Depth=1
	s_add_co_i32 s10, s8, 0x3eb
	s_mov_b32 s11, s9
	s_delay_alu instid0(SALU_CYCLE_1)
	v_mov_b64_e32 v[2:3], s[10:11]
	s_wait_xcnt 0x0
	global_store_b64 v0, v[2:3], s[6:7] scope:SCOPE_SYS
.LBB0_4010:                             ;   Parent Loop BB0_2003 Depth=1
                                        ; =>  This Inner Loop Header: Depth=2
	global_load_b64 v[2:3], v0, s[4:5] scope:SCOPE_SYS
	s_wait_loadcnt 0x0
	v_cmp_ne_u64_e32 vcc_lo, s[10:11], v[2:3]
	s_cbranch_vccnz .LBB0_4010
; %bb.4011:                             ;   in Loop: Header=BB0_2003 Depth=1
	s_add_co_i32 s10, s8, 0x3ec
	s_mov_b32 s11, s9
	s_delay_alu instid0(SALU_CYCLE_1)
	v_mov_b64_e32 v[2:3], s[10:11]
	s_wait_xcnt 0x0
	global_store_b64 v0, v[2:3], s[6:7] scope:SCOPE_SYS
.LBB0_4012:                             ;   Parent Loop BB0_2003 Depth=1
                                        ; =>  This Inner Loop Header: Depth=2
	global_load_b64 v[2:3], v0, s[4:5] scope:SCOPE_SYS
	s_wait_loadcnt 0x0
	v_cmp_ne_u64_e32 vcc_lo, s[10:11], v[2:3]
	s_cbranch_vccnz .LBB0_4012
; %bb.4013:                             ;   in Loop: Header=BB0_2003 Depth=1
	s_add_co_i32 s10, s8, 0x3ed
	s_mov_b32 s11, s9
	s_delay_alu instid0(SALU_CYCLE_1)
	v_mov_b64_e32 v[2:3], s[10:11]
	s_wait_xcnt 0x0
	global_store_b64 v0, v[2:3], s[6:7] scope:SCOPE_SYS
.LBB0_4014:                             ;   Parent Loop BB0_2003 Depth=1
                                        ; =>  This Inner Loop Header: Depth=2
	global_load_b64 v[2:3], v0, s[4:5] scope:SCOPE_SYS
	s_wait_loadcnt 0x0
	v_cmp_ne_u64_e32 vcc_lo, s[10:11], v[2:3]
	s_cbranch_vccnz .LBB0_4014
; %bb.4015:                             ;   in Loop: Header=BB0_2003 Depth=1
	s_add_co_i32 s10, s8, 0x3ee
	s_mov_b32 s11, s9
	s_delay_alu instid0(SALU_CYCLE_1)
	v_mov_b64_e32 v[2:3], s[10:11]
	s_wait_xcnt 0x0
	global_store_b64 v0, v[2:3], s[6:7] scope:SCOPE_SYS
.LBB0_4016:                             ;   Parent Loop BB0_2003 Depth=1
                                        ; =>  This Inner Loop Header: Depth=2
	global_load_b64 v[2:3], v0, s[4:5] scope:SCOPE_SYS
	s_wait_loadcnt 0x0
	v_cmp_ne_u64_e32 vcc_lo, s[10:11], v[2:3]
	s_cbranch_vccnz .LBB0_4016
; %bb.4017:                             ;   in Loop: Header=BB0_2003 Depth=1
	s_add_co_i32 s10, s8, 0x3ef
	s_mov_b32 s11, s9
	s_delay_alu instid0(SALU_CYCLE_1)
	v_mov_b64_e32 v[2:3], s[10:11]
	s_wait_xcnt 0x0
	global_store_b64 v0, v[2:3], s[6:7] scope:SCOPE_SYS
.LBB0_4018:                             ;   Parent Loop BB0_2003 Depth=1
                                        ; =>  This Inner Loop Header: Depth=2
	global_load_b64 v[2:3], v0, s[4:5] scope:SCOPE_SYS
	s_wait_loadcnt 0x0
	v_cmp_ne_u64_e32 vcc_lo, s[10:11], v[2:3]
	s_cbranch_vccnz .LBB0_4018
; %bb.4019:                             ;   in Loop: Header=BB0_2003 Depth=1
	s_add_co_i32 s10, s8, 0x3f0
	s_mov_b32 s11, s9
	s_delay_alu instid0(SALU_CYCLE_1)
	v_mov_b64_e32 v[2:3], s[10:11]
	s_wait_xcnt 0x0
	global_store_b64 v0, v[2:3], s[6:7] scope:SCOPE_SYS
.LBB0_4020:                             ;   Parent Loop BB0_2003 Depth=1
                                        ; =>  This Inner Loop Header: Depth=2
	global_load_b64 v[2:3], v0, s[4:5] scope:SCOPE_SYS
	s_wait_loadcnt 0x0
	v_cmp_ne_u64_e32 vcc_lo, s[10:11], v[2:3]
	s_cbranch_vccnz .LBB0_4020
; %bb.4021:                             ;   in Loop: Header=BB0_2003 Depth=1
	s_add_co_i32 s10, s8, 0x3f1
	s_mov_b32 s11, s9
	s_delay_alu instid0(SALU_CYCLE_1)
	v_mov_b64_e32 v[2:3], s[10:11]
	s_wait_xcnt 0x0
	global_store_b64 v0, v[2:3], s[6:7] scope:SCOPE_SYS
.LBB0_4022:                             ;   Parent Loop BB0_2003 Depth=1
                                        ; =>  This Inner Loop Header: Depth=2
	global_load_b64 v[2:3], v0, s[4:5] scope:SCOPE_SYS
	s_wait_loadcnt 0x0
	v_cmp_ne_u64_e32 vcc_lo, s[10:11], v[2:3]
	s_cbranch_vccnz .LBB0_4022
; %bb.4023:                             ;   in Loop: Header=BB0_2003 Depth=1
	s_add_co_i32 s10, s8, 0x3f2
	s_mov_b32 s11, s9
	s_delay_alu instid0(SALU_CYCLE_1)
	v_mov_b64_e32 v[2:3], s[10:11]
	s_wait_xcnt 0x0
	global_store_b64 v0, v[2:3], s[6:7] scope:SCOPE_SYS
.LBB0_4024:                             ;   Parent Loop BB0_2003 Depth=1
                                        ; =>  This Inner Loop Header: Depth=2
	global_load_b64 v[2:3], v0, s[4:5] scope:SCOPE_SYS
	s_wait_loadcnt 0x0
	v_cmp_ne_u64_e32 vcc_lo, s[10:11], v[2:3]
	s_cbranch_vccnz .LBB0_4024
; %bb.4025:                             ;   in Loop: Header=BB0_2003 Depth=1
	s_add_co_i32 s10, s8, 0x3f3
	s_mov_b32 s11, s9
	s_delay_alu instid0(SALU_CYCLE_1)
	v_mov_b64_e32 v[2:3], s[10:11]
	s_wait_xcnt 0x0
	global_store_b64 v0, v[2:3], s[6:7] scope:SCOPE_SYS
.LBB0_4026:                             ;   Parent Loop BB0_2003 Depth=1
                                        ; =>  This Inner Loop Header: Depth=2
	global_load_b64 v[2:3], v0, s[4:5] scope:SCOPE_SYS
	s_wait_loadcnt 0x0
	v_cmp_ne_u64_e32 vcc_lo, s[10:11], v[2:3]
	s_cbranch_vccnz .LBB0_4026
; %bb.4027:                             ;   in Loop: Header=BB0_2003 Depth=1
	s_add_co_i32 s10, s8, 0x3f4
	s_mov_b32 s11, s9
	s_delay_alu instid0(SALU_CYCLE_1)
	v_mov_b64_e32 v[2:3], s[10:11]
	s_wait_xcnt 0x0
	global_store_b64 v0, v[2:3], s[6:7] scope:SCOPE_SYS
.LBB0_4028:                             ;   Parent Loop BB0_2003 Depth=1
                                        ; =>  This Inner Loop Header: Depth=2
	global_load_b64 v[2:3], v0, s[4:5] scope:SCOPE_SYS
	s_wait_loadcnt 0x0
	v_cmp_ne_u64_e32 vcc_lo, s[10:11], v[2:3]
	s_cbranch_vccnz .LBB0_4028
; %bb.4029:                             ;   in Loop: Header=BB0_2003 Depth=1
	s_add_co_i32 s10, s8, 0x3f5
	s_mov_b32 s11, s9
	s_delay_alu instid0(SALU_CYCLE_1)
	v_mov_b64_e32 v[2:3], s[10:11]
	s_wait_xcnt 0x0
	global_store_b64 v0, v[2:3], s[6:7] scope:SCOPE_SYS
.LBB0_4030:                             ;   Parent Loop BB0_2003 Depth=1
                                        ; =>  This Inner Loop Header: Depth=2
	global_load_b64 v[2:3], v0, s[4:5] scope:SCOPE_SYS
	s_wait_loadcnt 0x0
	v_cmp_ne_u64_e32 vcc_lo, s[10:11], v[2:3]
	s_cbranch_vccnz .LBB0_4030
; %bb.4031:                             ;   in Loop: Header=BB0_2003 Depth=1
	s_add_co_i32 s10, s8, 0x3f6
	s_mov_b32 s11, s9
	s_delay_alu instid0(SALU_CYCLE_1)
	v_mov_b64_e32 v[2:3], s[10:11]
	s_wait_xcnt 0x0
	global_store_b64 v0, v[2:3], s[6:7] scope:SCOPE_SYS
.LBB0_4032:                             ;   Parent Loop BB0_2003 Depth=1
                                        ; =>  This Inner Loop Header: Depth=2
	global_load_b64 v[2:3], v0, s[4:5] scope:SCOPE_SYS
	s_wait_loadcnt 0x0
	v_cmp_ne_u64_e32 vcc_lo, s[10:11], v[2:3]
	s_cbranch_vccnz .LBB0_4032
; %bb.4033:                             ;   in Loop: Header=BB0_2003 Depth=1
	s_add_co_i32 s10, s8, 0x3f7
	s_mov_b32 s11, s9
	s_delay_alu instid0(SALU_CYCLE_1)
	v_mov_b64_e32 v[2:3], s[10:11]
	s_wait_xcnt 0x0
	global_store_b64 v0, v[2:3], s[6:7] scope:SCOPE_SYS
.LBB0_4034:                             ;   Parent Loop BB0_2003 Depth=1
                                        ; =>  This Inner Loop Header: Depth=2
	global_load_b64 v[2:3], v0, s[4:5] scope:SCOPE_SYS
	s_wait_loadcnt 0x0
	v_cmp_ne_u64_e32 vcc_lo, s[10:11], v[2:3]
	s_cbranch_vccnz .LBB0_4034
; %bb.4035:                             ;   in Loop: Header=BB0_2003 Depth=1
	s_add_co_i32 s10, s8, 0x3f8
	s_mov_b32 s11, s9
	s_delay_alu instid0(SALU_CYCLE_1)
	v_mov_b64_e32 v[2:3], s[10:11]
	s_wait_xcnt 0x0
	global_store_b64 v0, v[2:3], s[6:7] scope:SCOPE_SYS
.LBB0_4036:                             ;   Parent Loop BB0_2003 Depth=1
                                        ; =>  This Inner Loop Header: Depth=2
	global_load_b64 v[2:3], v0, s[4:5] scope:SCOPE_SYS
	s_wait_loadcnt 0x0
	v_cmp_ne_u64_e32 vcc_lo, s[10:11], v[2:3]
	s_cbranch_vccnz .LBB0_4036
; %bb.4037:                             ;   in Loop: Header=BB0_2003 Depth=1
	s_add_co_i32 s10, s8, 0x3f9
	s_mov_b32 s11, s9
	s_delay_alu instid0(SALU_CYCLE_1)
	v_mov_b64_e32 v[2:3], s[10:11]
	s_wait_xcnt 0x0
	global_store_b64 v0, v[2:3], s[6:7] scope:SCOPE_SYS
.LBB0_4038:                             ;   Parent Loop BB0_2003 Depth=1
                                        ; =>  This Inner Loop Header: Depth=2
	global_load_b64 v[2:3], v0, s[4:5] scope:SCOPE_SYS
	s_wait_loadcnt 0x0
	v_cmp_ne_u64_e32 vcc_lo, s[10:11], v[2:3]
	s_cbranch_vccnz .LBB0_4038
; %bb.4039:                             ;   in Loop: Header=BB0_2003 Depth=1
	s_add_co_i32 s10, s8, 0x3fa
	s_mov_b32 s11, s9
	s_delay_alu instid0(SALU_CYCLE_1)
	v_mov_b64_e32 v[2:3], s[10:11]
	s_wait_xcnt 0x0
	global_store_b64 v0, v[2:3], s[6:7] scope:SCOPE_SYS
.LBB0_4040:                             ;   Parent Loop BB0_2003 Depth=1
                                        ; =>  This Inner Loop Header: Depth=2
	global_load_b64 v[2:3], v0, s[4:5] scope:SCOPE_SYS
	s_wait_loadcnt 0x0
	v_cmp_ne_u64_e32 vcc_lo, s[10:11], v[2:3]
	s_cbranch_vccnz .LBB0_4040
; %bb.4041:                             ;   in Loop: Header=BB0_2003 Depth=1
	s_add_co_i32 s10, s8, 0x3fb
	s_mov_b32 s11, s9
	s_delay_alu instid0(SALU_CYCLE_1)
	v_mov_b64_e32 v[2:3], s[10:11]
	s_wait_xcnt 0x0
	global_store_b64 v0, v[2:3], s[6:7] scope:SCOPE_SYS
.LBB0_4042:                             ;   Parent Loop BB0_2003 Depth=1
                                        ; =>  This Inner Loop Header: Depth=2
	global_load_b64 v[2:3], v0, s[4:5] scope:SCOPE_SYS
	s_wait_loadcnt 0x0
	v_cmp_ne_u64_e32 vcc_lo, s[10:11], v[2:3]
	s_cbranch_vccnz .LBB0_4042
; %bb.4043:                             ;   in Loop: Header=BB0_2003 Depth=1
	s_add_co_i32 s10, s8, 0x3fc
	s_mov_b32 s11, s9
	s_delay_alu instid0(SALU_CYCLE_1)
	v_mov_b64_e32 v[2:3], s[10:11]
	s_wait_xcnt 0x0
	global_store_b64 v0, v[2:3], s[6:7] scope:SCOPE_SYS
.LBB0_4044:                             ;   Parent Loop BB0_2003 Depth=1
                                        ; =>  This Inner Loop Header: Depth=2
	global_load_b64 v[2:3], v0, s[4:5] scope:SCOPE_SYS
	s_wait_loadcnt 0x0
	v_cmp_ne_u64_e32 vcc_lo, s[10:11], v[2:3]
	s_cbranch_vccnz .LBB0_4044
; %bb.4045:                             ;   in Loop: Header=BB0_2003 Depth=1
	s_add_co_i32 s10, s8, 0x3fd
	s_mov_b32 s11, s9
	s_delay_alu instid0(SALU_CYCLE_1)
	v_mov_b64_e32 v[2:3], s[10:11]
	s_wait_xcnt 0x0
	global_store_b64 v0, v[2:3], s[6:7] scope:SCOPE_SYS
.LBB0_4046:                             ;   Parent Loop BB0_2003 Depth=1
                                        ; =>  This Inner Loop Header: Depth=2
	global_load_b64 v[2:3], v0, s[4:5] scope:SCOPE_SYS
	s_wait_loadcnt 0x0
	v_cmp_ne_u64_e32 vcc_lo, s[10:11], v[2:3]
	s_cbranch_vccnz .LBB0_4046
; %bb.4047:                             ;   in Loop: Header=BB0_2003 Depth=1
	s_add_co_i32 s10, s8, 0x3fe
	s_mov_b32 s11, s9
	s_delay_alu instid0(SALU_CYCLE_1)
	v_mov_b64_e32 v[2:3], s[10:11]
	s_wait_xcnt 0x0
	global_store_b64 v0, v[2:3], s[6:7] scope:SCOPE_SYS
.LBB0_4048:                             ;   Parent Loop BB0_2003 Depth=1
                                        ; =>  This Inner Loop Header: Depth=2
	global_load_b64 v[2:3], v0, s[4:5] scope:SCOPE_SYS
	s_wait_loadcnt 0x0
	v_cmp_ne_u64_e32 vcc_lo, s[10:11], v[2:3]
	s_cbranch_vccnz .LBB0_4048
; %bb.4049:                             ;   in Loop: Header=BB0_2003 Depth=1
	s_add_co_i32 s10, s8, 0x3ff
	s_mov_b32 s11, s9
	s_delay_alu instid0(SALU_CYCLE_1)
	v_mov_b64_e32 v[2:3], s[10:11]
	s_wait_xcnt 0x0
	global_store_b64 v0, v[2:3], s[6:7] scope:SCOPE_SYS
.LBB0_4050:                             ;   Parent Loop BB0_2003 Depth=1
                                        ; =>  This Inner Loop Header: Depth=2
	global_load_b64 v[2:3], v0, s[4:5] scope:SCOPE_SYS
	s_wait_loadcnt 0x0
	v_cmp_ne_u64_e32 vcc_lo, s[10:11], v[2:3]
	s_cbranch_vccnz .LBB0_4050
; %bb.4051:                             ;   in Loop: Header=BB0_2003 Depth=1
	s_add_co_i32 s10, s8, 0x400
	s_mov_b32 s11, s9
	s_delay_alu instid0(SALU_CYCLE_1)
	v_mov_b64_e32 v[2:3], s[10:11]
	s_wait_xcnt 0x0
	global_store_b64 v0, v[2:3], s[6:7] scope:SCOPE_SYS
.LBB0_4052:                             ;   Parent Loop BB0_2003 Depth=1
                                        ; =>  This Inner Loop Header: Depth=2
	global_load_b64 v[2:3], v0, s[4:5] scope:SCOPE_SYS
	s_wait_loadcnt 0x0
	v_cmp_ne_u64_e32 vcc_lo, s[10:11], v[2:3]
	s_cbranch_vccnz .LBB0_4052
; %bb.4053:                             ;   in Loop: Header=BB0_2003 Depth=1
	s_add_co_i32 s10, s8, 0x401
	s_mov_b32 s11, s9
	s_delay_alu instid0(SALU_CYCLE_1)
	v_mov_b64_e32 v[2:3], s[10:11]
	s_wait_xcnt 0x0
	global_store_b64 v0, v[2:3], s[6:7] scope:SCOPE_SYS
.LBB0_4054:                             ;   Parent Loop BB0_2003 Depth=1
                                        ; =>  This Inner Loop Header: Depth=2
	global_load_b64 v[2:3], v0, s[4:5] scope:SCOPE_SYS
	s_wait_loadcnt 0x0
	v_cmp_ne_u64_e32 vcc_lo, s[10:11], v[2:3]
	s_cbranch_vccnz .LBB0_4054
; %bb.4055:                             ;   in Loop: Header=BB0_2003 Depth=1
	s_add_co_i32 s10, s8, 0x402
	s_mov_b32 s11, s9
	s_delay_alu instid0(SALU_CYCLE_1)
	v_mov_b64_e32 v[2:3], s[10:11]
	s_wait_xcnt 0x0
	global_store_b64 v0, v[2:3], s[6:7] scope:SCOPE_SYS
.LBB0_4056:                             ;   Parent Loop BB0_2003 Depth=1
                                        ; =>  This Inner Loop Header: Depth=2
	global_load_b64 v[2:3], v0, s[4:5] scope:SCOPE_SYS
	s_wait_loadcnt 0x0
	v_cmp_ne_u64_e32 vcc_lo, s[10:11], v[2:3]
	s_cbranch_vccnz .LBB0_4056
; %bb.4057:                             ;   in Loop: Header=BB0_2003 Depth=1
	s_add_co_i32 s10, s8, 0x403
	s_mov_b32 s11, s9
	s_delay_alu instid0(SALU_CYCLE_1)
	v_mov_b64_e32 v[2:3], s[10:11]
	s_wait_xcnt 0x0
	global_store_b64 v0, v[2:3], s[6:7] scope:SCOPE_SYS
.LBB0_4058:                             ;   Parent Loop BB0_2003 Depth=1
                                        ; =>  This Inner Loop Header: Depth=2
	global_load_b64 v[2:3], v0, s[4:5] scope:SCOPE_SYS
	s_wait_loadcnt 0x0
	v_cmp_ne_u64_e32 vcc_lo, s[10:11], v[2:3]
	s_cbranch_vccnz .LBB0_4058
; %bb.4059:                             ;   in Loop: Header=BB0_2003 Depth=1
	s_add_co_i32 s10, s8, 0x404
	s_mov_b32 s11, s9
	s_delay_alu instid0(SALU_CYCLE_1)
	v_mov_b64_e32 v[2:3], s[10:11]
	s_wait_xcnt 0x0
	global_store_b64 v0, v[2:3], s[6:7] scope:SCOPE_SYS
.LBB0_4060:                             ;   Parent Loop BB0_2003 Depth=1
                                        ; =>  This Inner Loop Header: Depth=2
	global_load_b64 v[2:3], v0, s[4:5] scope:SCOPE_SYS
	s_wait_loadcnt 0x0
	v_cmp_ne_u64_e32 vcc_lo, s[10:11], v[2:3]
	s_cbranch_vccnz .LBB0_4060
; %bb.4061:                             ;   in Loop: Header=BB0_2003 Depth=1
	s_add_co_i32 s10, s8, 0x405
	s_mov_b32 s11, s9
	s_delay_alu instid0(SALU_CYCLE_1)
	v_mov_b64_e32 v[2:3], s[10:11]
	s_wait_xcnt 0x0
	global_store_b64 v0, v[2:3], s[6:7] scope:SCOPE_SYS
.LBB0_4062:                             ;   Parent Loop BB0_2003 Depth=1
                                        ; =>  This Inner Loop Header: Depth=2
	global_load_b64 v[2:3], v0, s[4:5] scope:SCOPE_SYS
	s_wait_loadcnt 0x0
	v_cmp_ne_u64_e32 vcc_lo, s[10:11], v[2:3]
	s_cbranch_vccnz .LBB0_4062
; %bb.4063:                             ;   in Loop: Header=BB0_2003 Depth=1
	s_add_co_i32 s10, s8, 0x406
	s_mov_b32 s11, s9
	s_delay_alu instid0(SALU_CYCLE_1)
	v_mov_b64_e32 v[2:3], s[10:11]
	s_wait_xcnt 0x0
	global_store_b64 v0, v[2:3], s[6:7] scope:SCOPE_SYS
.LBB0_4064:                             ;   Parent Loop BB0_2003 Depth=1
                                        ; =>  This Inner Loop Header: Depth=2
	global_load_b64 v[2:3], v0, s[4:5] scope:SCOPE_SYS
	s_wait_loadcnt 0x0
	v_cmp_ne_u64_e32 vcc_lo, s[10:11], v[2:3]
	s_cbranch_vccnz .LBB0_4064
; %bb.4065:                             ;   in Loop: Header=BB0_2003 Depth=1
	s_add_co_i32 s10, s8, 0x407
	s_mov_b32 s11, s9
	s_delay_alu instid0(SALU_CYCLE_1)
	v_mov_b64_e32 v[2:3], s[10:11]
	s_wait_xcnt 0x0
	global_store_b64 v0, v[2:3], s[6:7] scope:SCOPE_SYS
.LBB0_4066:                             ;   Parent Loop BB0_2003 Depth=1
                                        ; =>  This Inner Loop Header: Depth=2
	global_load_b64 v[2:3], v0, s[4:5] scope:SCOPE_SYS
	s_wait_loadcnt 0x0
	v_cmp_ne_u64_e32 vcc_lo, s[10:11], v[2:3]
	s_cbranch_vccnz .LBB0_4066
; %bb.4067:                             ;   in Loop: Header=BB0_2003 Depth=1
	s_add_co_i32 s10, s8, 0x408
	s_mov_b32 s11, s9
	s_delay_alu instid0(SALU_CYCLE_1)
	v_mov_b64_e32 v[2:3], s[10:11]
	s_wait_xcnt 0x0
	global_store_b64 v0, v[2:3], s[6:7] scope:SCOPE_SYS
.LBB0_4068:                             ;   Parent Loop BB0_2003 Depth=1
                                        ; =>  This Inner Loop Header: Depth=2
	global_load_b64 v[2:3], v0, s[4:5] scope:SCOPE_SYS
	s_wait_loadcnt 0x0
	v_cmp_ne_u64_e32 vcc_lo, s[10:11], v[2:3]
	s_cbranch_vccnz .LBB0_4068
; %bb.4069:                             ;   in Loop: Header=BB0_2003 Depth=1
	s_add_co_i32 s10, s8, 0x409
	s_mov_b32 s11, s9
	s_delay_alu instid0(SALU_CYCLE_1)
	v_mov_b64_e32 v[2:3], s[10:11]
	s_wait_xcnt 0x0
	global_store_b64 v0, v[2:3], s[6:7] scope:SCOPE_SYS
.LBB0_4070:                             ;   Parent Loop BB0_2003 Depth=1
                                        ; =>  This Inner Loop Header: Depth=2
	global_load_b64 v[2:3], v0, s[4:5] scope:SCOPE_SYS
	s_wait_loadcnt 0x0
	v_cmp_ne_u64_e32 vcc_lo, s[10:11], v[2:3]
	s_cbranch_vccnz .LBB0_4070
; %bb.4071:                             ;   in Loop: Header=BB0_2003 Depth=1
	s_add_co_i32 s10, s8, 0x40a
	s_mov_b32 s11, s9
	s_delay_alu instid0(SALU_CYCLE_1)
	v_mov_b64_e32 v[2:3], s[10:11]
	s_wait_xcnt 0x0
	global_store_b64 v0, v[2:3], s[6:7] scope:SCOPE_SYS
.LBB0_4072:                             ;   Parent Loop BB0_2003 Depth=1
                                        ; =>  This Inner Loop Header: Depth=2
	global_load_b64 v[2:3], v0, s[4:5] scope:SCOPE_SYS
	s_wait_loadcnt 0x0
	v_cmp_ne_u64_e32 vcc_lo, s[10:11], v[2:3]
	s_cbranch_vccnz .LBB0_4072
; %bb.4073:                             ;   in Loop: Header=BB0_2003 Depth=1
	s_add_co_i32 s10, s8, 0x40b
	s_mov_b32 s11, s9
	s_delay_alu instid0(SALU_CYCLE_1)
	v_mov_b64_e32 v[2:3], s[10:11]
	s_wait_xcnt 0x0
	global_store_b64 v0, v[2:3], s[6:7] scope:SCOPE_SYS
.LBB0_4074:                             ;   Parent Loop BB0_2003 Depth=1
                                        ; =>  This Inner Loop Header: Depth=2
	global_load_b64 v[2:3], v0, s[4:5] scope:SCOPE_SYS
	s_wait_loadcnt 0x0
	v_cmp_ne_u64_e32 vcc_lo, s[10:11], v[2:3]
	s_cbranch_vccnz .LBB0_4074
; %bb.4075:                             ;   in Loop: Header=BB0_2003 Depth=1
	s_add_co_i32 s10, s8, 0x40c
	s_mov_b32 s11, s9
	s_delay_alu instid0(SALU_CYCLE_1)
	v_mov_b64_e32 v[2:3], s[10:11]
	s_wait_xcnt 0x0
	global_store_b64 v0, v[2:3], s[6:7] scope:SCOPE_SYS
.LBB0_4076:                             ;   Parent Loop BB0_2003 Depth=1
                                        ; =>  This Inner Loop Header: Depth=2
	global_load_b64 v[2:3], v0, s[4:5] scope:SCOPE_SYS
	s_wait_loadcnt 0x0
	v_cmp_ne_u64_e32 vcc_lo, s[10:11], v[2:3]
	s_cbranch_vccnz .LBB0_4076
; %bb.4077:                             ;   in Loop: Header=BB0_2003 Depth=1
	s_add_co_i32 s10, s8, 0x40d
	s_mov_b32 s11, s9
	s_delay_alu instid0(SALU_CYCLE_1)
	v_mov_b64_e32 v[2:3], s[10:11]
	s_wait_xcnt 0x0
	global_store_b64 v0, v[2:3], s[6:7] scope:SCOPE_SYS
.LBB0_4078:                             ;   Parent Loop BB0_2003 Depth=1
                                        ; =>  This Inner Loop Header: Depth=2
	global_load_b64 v[2:3], v0, s[4:5] scope:SCOPE_SYS
	s_wait_loadcnt 0x0
	v_cmp_ne_u64_e32 vcc_lo, s[10:11], v[2:3]
	s_cbranch_vccnz .LBB0_4078
; %bb.4079:                             ;   in Loop: Header=BB0_2003 Depth=1
	s_add_co_i32 s10, s8, 0x40e
	s_mov_b32 s11, s9
	s_delay_alu instid0(SALU_CYCLE_1)
	v_mov_b64_e32 v[2:3], s[10:11]
	s_wait_xcnt 0x0
	global_store_b64 v0, v[2:3], s[6:7] scope:SCOPE_SYS
.LBB0_4080:                             ;   Parent Loop BB0_2003 Depth=1
                                        ; =>  This Inner Loop Header: Depth=2
	global_load_b64 v[2:3], v0, s[4:5] scope:SCOPE_SYS
	s_wait_loadcnt 0x0
	v_cmp_ne_u64_e32 vcc_lo, s[10:11], v[2:3]
	s_cbranch_vccnz .LBB0_4080
; %bb.4081:                             ;   in Loop: Header=BB0_2003 Depth=1
	s_add_co_i32 s10, s8, 0x40f
	s_mov_b32 s11, s9
	s_delay_alu instid0(SALU_CYCLE_1)
	v_mov_b64_e32 v[2:3], s[10:11]
	s_wait_xcnt 0x0
	global_store_b64 v0, v[2:3], s[6:7] scope:SCOPE_SYS
.LBB0_4082:                             ;   Parent Loop BB0_2003 Depth=1
                                        ; =>  This Inner Loop Header: Depth=2
	global_load_b64 v[2:3], v0, s[4:5] scope:SCOPE_SYS
	s_wait_loadcnt 0x0
	v_cmp_ne_u64_e32 vcc_lo, s[10:11], v[2:3]
	s_cbranch_vccnz .LBB0_4082
; %bb.4083:                             ;   in Loop: Header=BB0_2003 Depth=1
	s_add_co_i32 s10, s8, 0x410
	s_mov_b32 s11, s9
	s_delay_alu instid0(SALU_CYCLE_1)
	v_mov_b64_e32 v[2:3], s[10:11]
	s_wait_xcnt 0x0
	global_store_b64 v0, v[2:3], s[6:7] scope:SCOPE_SYS
.LBB0_4084:                             ;   Parent Loop BB0_2003 Depth=1
                                        ; =>  This Inner Loop Header: Depth=2
	global_load_b64 v[2:3], v0, s[4:5] scope:SCOPE_SYS
	s_wait_loadcnt 0x0
	v_cmp_ne_u64_e32 vcc_lo, s[10:11], v[2:3]
	s_cbranch_vccnz .LBB0_4084
; %bb.4085:                             ;   in Loop: Header=BB0_2003 Depth=1
	s_add_co_i32 s10, s8, 0x411
	s_mov_b32 s11, s9
	s_delay_alu instid0(SALU_CYCLE_1)
	v_mov_b64_e32 v[2:3], s[10:11]
	s_wait_xcnt 0x0
	global_store_b64 v0, v[2:3], s[6:7] scope:SCOPE_SYS
.LBB0_4086:                             ;   Parent Loop BB0_2003 Depth=1
                                        ; =>  This Inner Loop Header: Depth=2
	global_load_b64 v[2:3], v0, s[4:5] scope:SCOPE_SYS
	s_wait_loadcnt 0x0
	v_cmp_ne_u64_e32 vcc_lo, s[10:11], v[2:3]
	s_cbranch_vccnz .LBB0_4086
; %bb.4087:                             ;   in Loop: Header=BB0_2003 Depth=1
	s_add_co_i32 s10, s8, 0x412
	s_mov_b32 s11, s9
	s_delay_alu instid0(SALU_CYCLE_1)
	v_mov_b64_e32 v[2:3], s[10:11]
	s_wait_xcnt 0x0
	global_store_b64 v0, v[2:3], s[6:7] scope:SCOPE_SYS
.LBB0_4088:                             ;   Parent Loop BB0_2003 Depth=1
                                        ; =>  This Inner Loop Header: Depth=2
	global_load_b64 v[2:3], v0, s[4:5] scope:SCOPE_SYS
	s_wait_loadcnt 0x0
	v_cmp_ne_u64_e32 vcc_lo, s[10:11], v[2:3]
	s_cbranch_vccnz .LBB0_4088
; %bb.4089:                             ;   in Loop: Header=BB0_2003 Depth=1
	s_add_co_i32 s10, s8, 0x413
	s_mov_b32 s11, s9
	s_delay_alu instid0(SALU_CYCLE_1)
	v_mov_b64_e32 v[2:3], s[10:11]
	s_wait_xcnt 0x0
	global_store_b64 v0, v[2:3], s[6:7] scope:SCOPE_SYS
.LBB0_4090:                             ;   Parent Loop BB0_2003 Depth=1
                                        ; =>  This Inner Loop Header: Depth=2
	global_load_b64 v[2:3], v0, s[4:5] scope:SCOPE_SYS
	s_wait_loadcnt 0x0
	v_cmp_ne_u64_e32 vcc_lo, s[10:11], v[2:3]
	s_cbranch_vccnz .LBB0_4090
; %bb.4091:                             ;   in Loop: Header=BB0_2003 Depth=1
	s_add_co_i32 s10, s8, 0x414
	s_mov_b32 s11, s9
	s_delay_alu instid0(SALU_CYCLE_1)
	v_mov_b64_e32 v[2:3], s[10:11]
	s_wait_xcnt 0x0
	global_store_b64 v0, v[2:3], s[6:7] scope:SCOPE_SYS
.LBB0_4092:                             ;   Parent Loop BB0_2003 Depth=1
                                        ; =>  This Inner Loop Header: Depth=2
	global_load_b64 v[2:3], v0, s[4:5] scope:SCOPE_SYS
	s_wait_loadcnt 0x0
	v_cmp_ne_u64_e32 vcc_lo, s[10:11], v[2:3]
	s_cbranch_vccnz .LBB0_4092
; %bb.4093:                             ;   in Loop: Header=BB0_2003 Depth=1
	s_add_co_i32 s10, s8, 0x415
	s_mov_b32 s11, s9
	s_delay_alu instid0(SALU_CYCLE_1)
	v_mov_b64_e32 v[2:3], s[10:11]
	s_wait_xcnt 0x0
	global_store_b64 v0, v[2:3], s[6:7] scope:SCOPE_SYS
.LBB0_4094:                             ;   Parent Loop BB0_2003 Depth=1
                                        ; =>  This Inner Loop Header: Depth=2
	global_load_b64 v[2:3], v0, s[4:5] scope:SCOPE_SYS
	s_wait_loadcnt 0x0
	v_cmp_ne_u64_e32 vcc_lo, s[10:11], v[2:3]
	s_cbranch_vccnz .LBB0_4094
; %bb.4095:                             ;   in Loop: Header=BB0_2003 Depth=1
	s_add_co_i32 s10, s8, 0x416
	s_mov_b32 s11, s9
	s_delay_alu instid0(SALU_CYCLE_1)
	v_mov_b64_e32 v[2:3], s[10:11]
	s_wait_xcnt 0x0
	global_store_b64 v0, v[2:3], s[6:7] scope:SCOPE_SYS
.LBB0_4096:                             ;   Parent Loop BB0_2003 Depth=1
                                        ; =>  This Inner Loop Header: Depth=2
	global_load_b64 v[2:3], v0, s[4:5] scope:SCOPE_SYS
	s_wait_loadcnt 0x0
	v_cmp_ne_u64_e32 vcc_lo, s[10:11], v[2:3]
	s_cbranch_vccnz .LBB0_4096
; %bb.4097:                             ;   in Loop: Header=BB0_2003 Depth=1
	s_add_co_i32 s10, s8, 0x417
	s_mov_b32 s11, s9
	s_delay_alu instid0(SALU_CYCLE_1)
	v_mov_b64_e32 v[2:3], s[10:11]
	s_wait_xcnt 0x0
	global_store_b64 v0, v[2:3], s[6:7] scope:SCOPE_SYS
.LBB0_4098:                             ;   Parent Loop BB0_2003 Depth=1
                                        ; =>  This Inner Loop Header: Depth=2
	global_load_b64 v[2:3], v0, s[4:5] scope:SCOPE_SYS
	s_wait_loadcnt 0x0
	v_cmp_ne_u64_e32 vcc_lo, s[10:11], v[2:3]
	s_cbranch_vccnz .LBB0_4098
; %bb.4099:                             ;   in Loop: Header=BB0_2003 Depth=1
	s_add_co_i32 s10, s8, 0x418
	s_mov_b32 s11, s9
	s_delay_alu instid0(SALU_CYCLE_1)
	v_mov_b64_e32 v[2:3], s[10:11]
	s_wait_xcnt 0x0
	global_store_b64 v0, v[2:3], s[6:7] scope:SCOPE_SYS
.LBB0_4100:                             ;   Parent Loop BB0_2003 Depth=1
                                        ; =>  This Inner Loop Header: Depth=2
	global_load_b64 v[2:3], v0, s[4:5] scope:SCOPE_SYS
	s_wait_loadcnt 0x0
	v_cmp_ne_u64_e32 vcc_lo, s[10:11], v[2:3]
	s_cbranch_vccnz .LBB0_4100
; %bb.4101:                             ;   in Loop: Header=BB0_2003 Depth=1
	s_add_co_i32 s10, s8, 0x419
	s_mov_b32 s11, s9
	s_delay_alu instid0(SALU_CYCLE_1)
	v_mov_b64_e32 v[2:3], s[10:11]
	s_wait_xcnt 0x0
	global_store_b64 v0, v[2:3], s[6:7] scope:SCOPE_SYS
.LBB0_4102:                             ;   Parent Loop BB0_2003 Depth=1
                                        ; =>  This Inner Loop Header: Depth=2
	global_load_b64 v[2:3], v0, s[4:5] scope:SCOPE_SYS
	s_wait_loadcnt 0x0
	v_cmp_ne_u64_e32 vcc_lo, s[10:11], v[2:3]
	s_cbranch_vccnz .LBB0_4102
; %bb.4103:                             ;   in Loop: Header=BB0_2003 Depth=1
	s_add_co_i32 s10, s8, 0x41a
	s_mov_b32 s11, s9
	s_delay_alu instid0(SALU_CYCLE_1)
	v_mov_b64_e32 v[2:3], s[10:11]
	s_wait_xcnt 0x0
	global_store_b64 v0, v[2:3], s[6:7] scope:SCOPE_SYS
.LBB0_4104:                             ;   Parent Loop BB0_2003 Depth=1
                                        ; =>  This Inner Loop Header: Depth=2
	global_load_b64 v[2:3], v0, s[4:5] scope:SCOPE_SYS
	s_wait_loadcnt 0x0
	v_cmp_ne_u64_e32 vcc_lo, s[10:11], v[2:3]
	s_cbranch_vccnz .LBB0_4104
; %bb.4105:                             ;   in Loop: Header=BB0_2003 Depth=1
	s_add_co_i32 s10, s8, 0x41b
	s_mov_b32 s11, s9
	s_delay_alu instid0(SALU_CYCLE_1)
	v_mov_b64_e32 v[2:3], s[10:11]
	s_wait_xcnt 0x0
	global_store_b64 v0, v[2:3], s[6:7] scope:SCOPE_SYS
.LBB0_4106:                             ;   Parent Loop BB0_2003 Depth=1
                                        ; =>  This Inner Loop Header: Depth=2
	global_load_b64 v[2:3], v0, s[4:5] scope:SCOPE_SYS
	s_wait_loadcnt 0x0
	v_cmp_ne_u64_e32 vcc_lo, s[10:11], v[2:3]
	s_cbranch_vccnz .LBB0_4106
; %bb.4107:                             ;   in Loop: Header=BB0_2003 Depth=1
	s_add_co_i32 s10, s8, 0x41c
	s_mov_b32 s11, s9
	s_delay_alu instid0(SALU_CYCLE_1)
	v_mov_b64_e32 v[2:3], s[10:11]
	s_wait_xcnt 0x0
	global_store_b64 v0, v[2:3], s[6:7] scope:SCOPE_SYS
.LBB0_4108:                             ;   Parent Loop BB0_2003 Depth=1
                                        ; =>  This Inner Loop Header: Depth=2
	global_load_b64 v[2:3], v0, s[4:5] scope:SCOPE_SYS
	s_wait_loadcnt 0x0
	v_cmp_ne_u64_e32 vcc_lo, s[10:11], v[2:3]
	s_cbranch_vccnz .LBB0_4108
; %bb.4109:                             ;   in Loop: Header=BB0_2003 Depth=1
	s_add_co_i32 s10, s8, 0x41d
	s_mov_b32 s11, s9
	s_delay_alu instid0(SALU_CYCLE_1)
	v_mov_b64_e32 v[2:3], s[10:11]
	s_wait_xcnt 0x0
	global_store_b64 v0, v[2:3], s[6:7] scope:SCOPE_SYS
.LBB0_4110:                             ;   Parent Loop BB0_2003 Depth=1
                                        ; =>  This Inner Loop Header: Depth=2
	global_load_b64 v[2:3], v0, s[4:5] scope:SCOPE_SYS
	s_wait_loadcnt 0x0
	v_cmp_ne_u64_e32 vcc_lo, s[10:11], v[2:3]
	s_cbranch_vccnz .LBB0_4110
; %bb.4111:                             ;   in Loop: Header=BB0_2003 Depth=1
	s_add_co_i32 s10, s8, 0x41e
	s_mov_b32 s11, s9
	s_delay_alu instid0(SALU_CYCLE_1)
	v_mov_b64_e32 v[2:3], s[10:11]
	s_wait_xcnt 0x0
	global_store_b64 v0, v[2:3], s[6:7] scope:SCOPE_SYS
.LBB0_4112:                             ;   Parent Loop BB0_2003 Depth=1
                                        ; =>  This Inner Loop Header: Depth=2
	global_load_b64 v[2:3], v0, s[4:5] scope:SCOPE_SYS
	s_wait_loadcnt 0x0
	v_cmp_ne_u64_e32 vcc_lo, s[10:11], v[2:3]
	s_cbranch_vccnz .LBB0_4112
; %bb.4113:                             ;   in Loop: Header=BB0_2003 Depth=1
	s_add_co_i32 s10, s8, 0x41f
	s_mov_b32 s11, s9
	s_delay_alu instid0(SALU_CYCLE_1)
	v_mov_b64_e32 v[2:3], s[10:11]
	s_wait_xcnt 0x0
	global_store_b64 v0, v[2:3], s[6:7] scope:SCOPE_SYS
.LBB0_4114:                             ;   Parent Loop BB0_2003 Depth=1
                                        ; =>  This Inner Loop Header: Depth=2
	global_load_b64 v[2:3], v0, s[4:5] scope:SCOPE_SYS
	s_wait_loadcnt 0x0
	v_cmp_ne_u64_e32 vcc_lo, s[10:11], v[2:3]
	s_cbranch_vccnz .LBB0_4114
; %bb.4115:                             ;   in Loop: Header=BB0_2003 Depth=1
	s_add_co_i32 s10, s8, 0x420
	s_mov_b32 s11, s9
	s_delay_alu instid0(SALU_CYCLE_1)
	v_mov_b64_e32 v[2:3], s[10:11]
	s_wait_xcnt 0x0
	global_store_b64 v0, v[2:3], s[6:7] scope:SCOPE_SYS
.LBB0_4116:                             ;   Parent Loop BB0_2003 Depth=1
                                        ; =>  This Inner Loop Header: Depth=2
	global_load_b64 v[2:3], v0, s[4:5] scope:SCOPE_SYS
	s_wait_loadcnt 0x0
	v_cmp_ne_u64_e32 vcc_lo, s[10:11], v[2:3]
	s_cbranch_vccnz .LBB0_4116
; %bb.4117:                             ;   in Loop: Header=BB0_2003 Depth=1
	s_add_co_i32 s10, s8, 0x421
	s_mov_b32 s11, s9
	s_delay_alu instid0(SALU_CYCLE_1)
	v_mov_b64_e32 v[2:3], s[10:11]
	s_wait_xcnt 0x0
	global_store_b64 v0, v[2:3], s[6:7] scope:SCOPE_SYS
.LBB0_4118:                             ;   Parent Loop BB0_2003 Depth=1
                                        ; =>  This Inner Loop Header: Depth=2
	global_load_b64 v[2:3], v0, s[4:5] scope:SCOPE_SYS
	s_wait_loadcnt 0x0
	v_cmp_ne_u64_e32 vcc_lo, s[10:11], v[2:3]
	s_cbranch_vccnz .LBB0_4118
; %bb.4119:                             ;   in Loop: Header=BB0_2003 Depth=1
	s_add_co_i32 s10, s8, 0x422
	s_mov_b32 s11, s9
	s_delay_alu instid0(SALU_CYCLE_1)
	v_mov_b64_e32 v[2:3], s[10:11]
	s_wait_xcnt 0x0
	global_store_b64 v0, v[2:3], s[6:7] scope:SCOPE_SYS
.LBB0_4120:                             ;   Parent Loop BB0_2003 Depth=1
                                        ; =>  This Inner Loop Header: Depth=2
	global_load_b64 v[2:3], v0, s[4:5] scope:SCOPE_SYS
	s_wait_loadcnt 0x0
	v_cmp_ne_u64_e32 vcc_lo, s[10:11], v[2:3]
	s_cbranch_vccnz .LBB0_4120
; %bb.4121:                             ;   in Loop: Header=BB0_2003 Depth=1
	s_add_co_i32 s10, s8, 0x423
	s_mov_b32 s11, s9
	s_delay_alu instid0(SALU_CYCLE_1)
	v_mov_b64_e32 v[2:3], s[10:11]
	s_wait_xcnt 0x0
	global_store_b64 v0, v[2:3], s[6:7] scope:SCOPE_SYS
.LBB0_4122:                             ;   Parent Loop BB0_2003 Depth=1
                                        ; =>  This Inner Loop Header: Depth=2
	global_load_b64 v[2:3], v0, s[4:5] scope:SCOPE_SYS
	s_wait_loadcnt 0x0
	v_cmp_ne_u64_e32 vcc_lo, s[10:11], v[2:3]
	s_cbranch_vccnz .LBB0_4122
; %bb.4123:                             ;   in Loop: Header=BB0_2003 Depth=1
	s_add_co_i32 s10, s8, 0x424
	s_mov_b32 s11, s9
	s_delay_alu instid0(SALU_CYCLE_1)
	v_mov_b64_e32 v[2:3], s[10:11]
	s_wait_xcnt 0x0
	global_store_b64 v0, v[2:3], s[6:7] scope:SCOPE_SYS
.LBB0_4124:                             ;   Parent Loop BB0_2003 Depth=1
                                        ; =>  This Inner Loop Header: Depth=2
	global_load_b64 v[2:3], v0, s[4:5] scope:SCOPE_SYS
	s_wait_loadcnt 0x0
	v_cmp_ne_u64_e32 vcc_lo, s[10:11], v[2:3]
	s_cbranch_vccnz .LBB0_4124
; %bb.4125:                             ;   in Loop: Header=BB0_2003 Depth=1
	s_add_co_i32 s10, s8, 0x425
	s_mov_b32 s11, s9
	s_delay_alu instid0(SALU_CYCLE_1)
	v_mov_b64_e32 v[2:3], s[10:11]
	s_wait_xcnt 0x0
	global_store_b64 v0, v[2:3], s[6:7] scope:SCOPE_SYS
.LBB0_4126:                             ;   Parent Loop BB0_2003 Depth=1
                                        ; =>  This Inner Loop Header: Depth=2
	global_load_b64 v[2:3], v0, s[4:5] scope:SCOPE_SYS
	s_wait_loadcnt 0x0
	v_cmp_ne_u64_e32 vcc_lo, s[10:11], v[2:3]
	s_cbranch_vccnz .LBB0_4126
; %bb.4127:                             ;   in Loop: Header=BB0_2003 Depth=1
	s_add_co_i32 s10, s8, 0x426
	s_mov_b32 s11, s9
	s_delay_alu instid0(SALU_CYCLE_1)
	v_mov_b64_e32 v[2:3], s[10:11]
	s_wait_xcnt 0x0
	global_store_b64 v0, v[2:3], s[6:7] scope:SCOPE_SYS
.LBB0_4128:                             ;   Parent Loop BB0_2003 Depth=1
                                        ; =>  This Inner Loop Header: Depth=2
	global_load_b64 v[2:3], v0, s[4:5] scope:SCOPE_SYS
	s_wait_loadcnt 0x0
	v_cmp_ne_u64_e32 vcc_lo, s[10:11], v[2:3]
	s_cbranch_vccnz .LBB0_4128
; %bb.4129:                             ;   in Loop: Header=BB0_2003 Depth=1
	s_add_co_i32 s10, s8, 0x427
	s_mov_b32 s11, s9
	s_delay_alu instid0(SALU_CYCLE_1)
	v_mov_b64_e32 v[2:3], s[10:11]
	s_wait_xcnt 0x0
	global_store_b64 v0, v[2:3], s[6:7] scope:SCOPE_SYS
.LBB0_4130:                             ;   Parent Loop BB0_2003 Depth=1
                                        ; =>  This Inner Loop Header: Depth=2
	global_load_b64 v[2:3], v0, s[4:5] scope:SCOPE_SYS
	s_wait_loadcnt 0x0
	v_cmp_ne_u64_e32 vcc_lo, s[10:11], v[2:3]
	s_cbranch_vccnz .LBB0_4130
; %bb.4131:                             ;   in Loop: Header=BB0_2003 Depth=1
	s_add_co_i32 s10, s8, 0x428
	s_mov_b32 s11, s9
	s_delay_alu instid0(SALU_CYCLE_1)
	v_mov_b64_e32 v[2:3], s[10:11]
	s_wait_xcnt 0x0
	global_store_b64 v0, v[2:3], s[6:7] scope:SCOPE_SYS
.LBB0_4132:                             ;   Parent Loop BB0_2003 Depth=1
                                        ; =>  This Inner Loop Header: Depth=2
	global_load_b64 v[2:3], v0, s[4:5] scope:SCOPE_SYS
	s_wait_loadcnt 0x0
	v_cmp_ne_u64_e32 vcc_lo, s[10:11], v[2:3]
	s_cbranch_vccnz .LBB0_4132
; %bb.4133:                             ;   in Loop: Header=BB0_2003 Depth=1
	s_add_co_i32 s10, s8, 0x429
	s_mov_b32 s11, s9
	s_delay_alu instid0(SALU_CYCLE_1)
	v_mov_b64_e32 v[2:3], s[10:11]
	s_wait_xcnt 0x0
	global_store_b64 v0, v[2:3], s[6:7] scope:SCOPE_SYS
.LBB0_4134:                             ;   Parent Loop BB0_2003 Depth=1
                                        ; =>  This Inner Loop Header: Depth=2
	global_load_b64 v[2:3], v0, s[4:5] scope:SCOPE_SYS
	s_wait_loadcnt 0x0
	v_cmp_ne_u64_e32 vcc_lo, s[10:11], v[2:3]
	s_cbranch_vccnz .LBB0_4134
; %bb.4135:                             ;   in Loop: Header=BB0_2003 Depth=1
	s_add_co_i32 s10, s8, 0x42a
	s_mov_b32 s11, s9
	s_delay_alu instid0(SALU_CYCLE_1)
	v_mov_b64_e32 v[2:3], s[10:11]
	s_wait_xcnt 0x0
	global_store_b64 v0, v[2:3], s[6:7] scope:SCOPE_SYS
.LBB0_4136:                             ;   Parent Loop BB0_2003 Depth=1
                                        ; =>  This Inner Loop Header: Depth=2
	global_load_b64 v[2:3], v0, s[4:5] scope:SCOPE_SYS
	s_wait_loadcnt 0x0
	v_cmp_ne_u64_e32 vcc_lo, s[10:11], v[2:3]
	s_cbranch_vccnz .LBB0_4136
; %bb.4137:                             ;   in Loop: Header=BB0_2003 Depth=1
	s_add_co_i32 s10, s8, 0x42b
	s_mov_b32 s11, s9
	s_delay_alu instid0(SALU_CYCLE_1)
	v_mov_b64_e32 v[2:3], s[10:11]
	s_wait_xcnt 0x0
	global_store_b64 v0, v[2:3], s[6:7] scope:SCOPE_SYS
.LBB0_4138:                             ;   Parent Loop BB0_2003 Depth=1
                                        ; =>  This Inner Loop Header: Depth=2
	global_load_b64 v[2:3], v0, s[4:5] scope:SCOPE_SYS
	s_wait_loadcnt 0x0
	v_cmp_ne_u64_e32 vcc_lo, s[10:11], v[2:3]
	s_cbranch_vccnz .LBB0_4138
; %bb.4139:                             ;   in Loop: Header=BB0_2003 Depth=1
	s_add_co_i32 s10, s8, 0x42c
	s_mov_b32 s11, s9
	s_delay_alu instid0(SALU_CYCLE_1)
	v_mov_b64_e32 v[2:3], s[10:11]
	s_wait_xcnt 0x0
	global_store_b64 v0, v[2:3], s[6:7] scope:SCOPE_SYS
.LBB0_4140:                             ;   Parent Loop BB0_2003 Depth=1
                                        ; =>  This Inner Loop Header: Depth=2
	global_load_b64 v[2:3], v0, s[4:5] scope:SCOPE_SYS
	s_wait_loadcnt 0x0
	v_cmp_ne_u64_e32 vcc_lo, s[10:11], v[2:3]
	s_cbranch_vccnz .LBB0_4140
; %bb.4141:                             ;   in Loop: Header=BB0_2003 Depth=1
	s_add_co_i32 s10, s8, 0x42d
	s_mov_b32 s11, s9
	s_delay_alu instid0(SALU_CYCLE_1)
	v_mov_b64_e32 v[2:3], s[10:11]
	s_wait_xcnt 0x0
	global_store_b64 v0, v[2:3], s[6:7] scope:SCOPE_SYS
.LBB0_4142:                             ;   Parent Loop BB0_2003 Depth=1
                                        ; =>  This Inner Loop Header: Depth=2
	global_load_b64 v[2:3], v0, s[4:5] scope:SCOPE_SYS
	s_wait_loadcnt 0x0
	v_cmp_ne_u64_e32 vcc_lo, s[10:11], v[2:3]
	s_cbranch_vccnz .LBB0_4142
; %bb.4143:                             ;   in Loop: Header=BB0_2003 Depth=1
	s_add_co_i32 s10, s8, 0x42e
	s_mov_b32 s11, s9
	s_delay_alu instid0(SALU_CYCLE_1)
	v_mov_b64_e32 v[2:3], s[10:11]
	s_wait_xcnt 0x0
	global_store_b64 v0, v[2:3], s[6:7] scope:SCOPE_SYS
.LBB0_4144:                             ;   Parent Loop BB0_2003 Depth=1
                                        ; =>  This Inner Loop Header: Depth=2
	global_load_b64 v[2:3], v0, s[4:5] scope:SCOPE_SYS
	s_wait_loadcnt 0x0
	v_cmp_ne_u64_e32 vcc_lo, s[10:11], v[2:3]
	s_cbranch_vccnz .LBB0_4144
; %bb.4145:                             ;   in Loop: Header=BB0_2003 Depth=1
	s_add_co_i32 s10, s8, 0x42f
	s_mov_b32 s11, s9
	s_delay_alu instid0(SALU_CYCLE_1)
	v_mov_b64_e32 v[2:3], s[10:11]
	s_wait_xcnt 0x0
	global_store_b64 v0, v[2:3], s[6:7] scope:SCOPE_SYS
.LBB0_4146:                             ;   Parent Loop BB0_2003 Depth=1
                                        ; =>  This Inner Loop Header: Depth=2
	global_load_b64 v[2:3], v0, s[4:5] scope:SCOPE_SYS
	s_wait_loadcnt 0x0
	v_cmp_ne_u64_e32 vcc_lo, s[10:11], v[2:3]
	s_cbranch_vccnz .LBB0_4146
; %bb.4147:                             ;   in Loop: Header=BB0_2003 Depth=1
	s_add_co_i32 s10, s8, 0x430
	s_mov_b32 s11, s9
	s_delay_alu instid0(SALU_CYCLE_1)
	v_mov_b64_e32 v[2:3], s[10:11]
	s_wait_xcnt 0x0
	global_store_b64 v0, v[2:3], s[6:7] scope:SCOPE_SYS
.LBB0_4148:                             ;   Parent Loop BB0_2003 Depth=1
                                        ; =>  This Inner Loop Header: Depth=2
	global_load_b64 v[2:3], v0, s[4:5] scope:SCOPE_SYS
	s_wait_loadcnt 0x0
	v_cmp_ne_u64_e32 vcc_lo, s[10:11], v[2:3]
	s_cbranch_vccnz .LBB0_4148
; %bb.4149:                             ;   in Loop: Header=BB0_2003 Depth=1
	s_add_co_i32 s10, s8, 0x431
	s_mov_b32 s11, s9
	s_delay_alu instid0(SALU_CYCLE_1)
	v_mov_b64_e32 v[2:3], s[10:11]
	s_wait_xcnt 0x0
	global_store_b64 v0, v[2:3], s[6:7] scope:SCOPE_SYS
.LBB0_4150:                             ;   Parent Loop BB0_2003 Depth=1
                                        ; =>  This Inner Loop Header: Depth=2
	global_load_b64 v[2:3], v0, s[4:5] scope:SCOPE_SYS
	s_wait_loadcnt 0x0
	v_cmp_ne_u64_e32 vcc_lo, s[10:11], v[2:3]
	s_cbranch_vccnz .LBB0_4150
; %bb.4151:                             ;   in Loop: Header=BB0_2003 Depth=1
	s_add_co_i32 s10, s8, 0x432
	s_mov_b32 s11, s9
	s_delay_alu instid0(SALU_CYCLE_1)
	v_mov_b64_e32 v[2:3], s[10:11]
	s_wait_xcnt 0x0
	global_store_b64 v0, v[2:3], s[6:7] scope:SCOPE_SYS
.LBB0_4152:                             ;   Parent Loop BB0_2003 Depth=1
                                        ; =>  This Inner Loop Header: Depth=2
	global_load_b64 v[2:3], v0, s[4:5] scope:SCOPE_SYS
	s_wait_loadcnt 0x0
	v_cmp_ne_u64_e32 vcc_lo, s[10:11], v[2:3]
	s_cbranch_vccnz .LBB0_4152
; %bb.4153:                             ;   in Loop: Header=BB0_2003 Depth=1
	s_add_co_i32 s10, s8, 0x433
	s_mov_b32 s11, s9
	s_delay_alu instid0(SALU_CYCLE_1)
	v_mov_b64_e32 v[2:3], s[10:11]
	s_wait_xcnt 0x0
	global_store_b64 v0, v[2:3], s[6:7] scope:SCOPE_SYS
.LBB0_4154:                             ;   Parent Loop BB0_2003 Depth=1
                                        ; =>  This Inner Loop Header: Depth=2
	global_load_b64 v[2:3], v0, s[4:5] scope:SCOPE_SYS
	s_wait_loadcnt 0x0
	v_cmp_ne_u64_e32 vcc_lo, s[10:11], v[2:3]
	s_cbranch_vccnz .LBB0_4154
; %bb.4155:                             ;   in Loop: Header=BB0_2003 Depth=1
	s_add_co_i32 s10, s8, 0x434
	s_mov_b32 s11, s9
	s_delay_alu instid0(SALU_CYCLE_1)
	v_mov_b64_e32 v[2:3], s[10:11]
	s_wait_xcnt 0x0
	global_store_b64 v0, v[2:3], s[6:7] scope:SCOPE_SYS
.LBB0_4156:                             ;   Parent Loop BB0_2003 Depth=1
                                        ; =>  This Inner Loop Header: Depth=2
	global_load_b64 v[2:3], v0, s[4:5] scope:SCOPE_SYS
	s_wait_loadcnt 0x0
	v_cmp_ne_u64_e32 vcc_lo, s[10:11], v[2:3]
	s_cbranch_vccnz .LBB0_4156
; %bb.4157:                             ;   in Loop: Header=BB0_2003 Depth=1
	s_add_co_i32 s10, s8, 0x435
	s_mov_b32 s11, s9
	s_delay_alu instid0(SALU_CYCLE_1)
	v_mov_b64_e32 v[2:3], s[10:11]
	s_wait_xcnt 0x0
	global_store_b64 v0, v[2:3], s[6:7] scope:SCOPE_SYS
.LBB0_4158:                             ;   Parent Loop BB0_2003 Depth=1
                                        ; =>  This Inner Loop Header: Depth=2
	global_load_b64 v[2:3], v0, s[4:5] scope:SCOPE_SYS
	s_wait_loadcnt 0x0
	v_cmp_ne_u64_e32 vcc_lo, s[10:11], v[2:3]
	s_cbranch_vccnz .LBB0_4158
; %bb.4159:                             ;   in Loop: Header=BB0_2003 Depth=1
	s_add_co_i32 s10, s8, 0x436
	s_mov_b32 s11, s9
	s_delay_alu instid0(SALU_CYCLE_1)
	v_mov_b64_e32 v[2:3], s[10:11]
	s_wait_xcnt 0x0
	global_store_b64 v0, v[2:3], s[6:7] scope:SCOPE_SYS
.LBB0_4160:                             ;   Parent Loop BB0_2003 Depth=1
                                        ; =>  This Inner Loop Header: Depth=2
	global_load_b64 v[2:3], v0, s[4:5] scope:SCOPE_SYS
	s_wait_loadcnt 0x0
	v_cmp_ne_u64_e32 vcc_lo, s[10:11], v[2:3]
	s_cbranch_vccnz .LBB0_4160
; %bb.4161:                             ;   in Loop: Header=BB0_2003 Depth=1
	s_add_co_i32 s10, s8, 0x437
	s_mov_b32 s11, s9
	s_delay_alu instid0(SALU_CYCLE_1)
	v_mov_b64_e32 v[2:3], s[10:11]
	s_wait_xcnt 0x0
	global_store_b64 v0, v[2:3], s[6:7] scope:SCOPE_SYS
.LBB0_4162:                             ;   Parent Loop BB0_2003 Depth=1
                                        ; =>  This Inner Loop Header: Depth=2
	global_load_b64 v[2:3], v0, s[4:5] scope:SCOPE_SYS
	s_wait_loadcnt 0x0
	v_cmp_ne_u64_e32 vcc_lo, s[10:11], v[2:3]
	s_cbranch_vccnz .LBB0_4162
; %bb.4163:                             ;   in Loop: Header=BB0_2003 Depth=1
	s_add_co_i32 s10, s8, 0x438
	s_mov_b32 s11, s9
	s_delay_alu instid0(SALU_CYCLE_1)
	v_mov_b64_e32 v[2:3], s[10:11]
	s_wait_xcnt 0x0
	global_store_b64 v0, v[2:3], s[6:7] scope:SCOPE_SYS
.LBB0_4164:                             ;   Parent Loop BB0_2003 Depth=1
                                        ; =>  This Inner Loop Header: Depth=2
	global_load_b64 v[2:3], v0, s[4:5] scope:SCOPE_SYS
	s_wait_loadcnt 0x0
	v_cmp_ne_u64_e32 vcc_lo, s[10:11], v[2:3]
	s_cbranch_vccnz .LBB0_4164
; %bb.4165:                             ;   in Loop: Header=BB0_2003 Depth=1
	s_add_co_i32 s10, s8, 0x439
	s_mov_b32 s11, s9
	s_delay_alu instid0(SALU_CYCLE_1)
	v_mov_b64_e32 v[2:3], s[10:11]
	s_wait_xcnt 0x0
	global_store_b64 v0, v[2:3], s[6:7] scope:SCOPE_SYS
.LBB0_4166:                             ;   Parent Loop BB0_2003 Depth=1
                                        ; =>  This Inner Loop Header: Depth=2
	global_load_b64 v[2:3], v0, s[4:5] scope:SCOPE_SYS
	s_wait_loadcnt 0x0
	v_cmp_ne_u64_e32 vcc_lo, s[10:11], v[2:3]
	s_cbranch_vccnz .LBB0_4166
; %bb.4167:                             ;   in Loop: Header=BB0_2003 Depth=1
	s_add_co_i32 s10, s8, 0x43a
	s_mov_b32 s11, s9
	s_delay_alu instid0(SALU_CYCLE_1)
	v_mov_b64_e32 v[2:3], s[10:11]
	s_wait_xcnt 0x0
	global_store_b64 v0, v[2:3], s[6:7] scope:SCOPE_SYS
.LBB0_4168:                             ;   Parent Loop BB0_2003 Depth=1
                                        ; =>  This Inner Loop Header: Depth=2
	global_load_b64 v[2:3], v0, s[4:5] scope:SCOPE_SYS
	s_wait_loadcnt 0x0
	v_cmp_ne_u64_e32 vcc_lo, s[10:11], v[2:3]
	s_cbranch_vccnz .LBB0_4168
; %bb.4169:                             ;   in Loop: Header=BB0_2003 Depth=1
	s_add_co_i32 s10, s8, 0x43b
	s_mov_b32 s11, s9
	s_delay_alu instid0(SALU_CYCLE_1)
	v_mov_b64_e32 v[2:3], s[10:11]
	s_wait_xcnt 0x0
	global_store_b64 v0, v[2:3], s[6:7] scope:SCOPE_SYS
.LBB0_4170:                             ;   Parent Loop BB0_2003 Depth=1
                                        ; =>  This Inner Loop Header: Depth=2
	global_load_b64 v[2:3], v0, s[4:5] scope:SCOPE_SYS
	s_wait_loadcnt 0x0
	v_cmp_ne_u64_e32 vcc_lo, s[10:11], v[2:3]
	s_cbranch_vccnz .LBB0_4170
; %bb.4171:                             ;   in Loop: Header=BB0_2003 Depth=1
	s_add_co_i32 s10, s8, 0x43c
	s_mov_b32 s11, s9
	s_delay_alu instid0(SALU_CYCLE_1)
	v_mov_b64_e32 v[2:3], s[10:11]
	s_wait_xcnt 0x0
	global_store_b64 v0, v[2:3], s[6:7] scope:SCOPE_SYS
.LBB0_4172:                             ;   Parent Loop BB0_2003 Depth=1
                                        ; =>  This Inner Loop Header: Depth=2
	global_load_b64 v[2:3], v0, s[4:5] scope:SCOPE_SYS
	s_wait_loadcnt 0x0
	v_cmp_ne_u64_e32 vcc_lo, s[10:11], v[2:3]
	s_cbranch_vccnz .LBB0_4172
; %bb.4173:                             ;   in Loop: Header=BB0_2003 Depth=1
	s_add_co_i32 s10, s8, 0x43d
	s_mov_b32 s11, s9
	s_delay_alu instid0(SALU_CYCLE_1)
	v_mov_b64_e32 v[2:3], s[10:11]
	s_wait_xcnt 0x0
	global_store_b64 v0, v[2:3], s[6:7] scope:SCOPE_SYS
.LBB0_4174:                             ;   Parent Loop BB0_2003 Depth=1
                                        ; =>  This Inner Loop Header: Depth=2
	global_load_b64 v[2:3], v0, s[4:5] scope:SCOPE_SYS
	s_wait_loadcnt 0x0
	v_cmp_ne_u64_e32 vcc_lo, s[10:11], v[2:3]
	s_cbranch_vccnz .LBB0_4174
; %bb.4175:                             ;   in Loop: Header=BB0_2003 Depth=1
	s_add_co_i32 s10, s8, 0x43e
	s_mov_b32 s11, s9
	s_delay_alu instid0(SALU_CYCLE_1)
	v_mov_b64_e32 v[2:3], s[10:11]
	s_wait_xcnt 0x0
	global_store_b64 v0, v[2:3], s[6:7] scope:SCOPE_SYS
.LBB0_4176:                             ;   Parent Loop BB0_2003 Depth=1
                                        ; =>  This Inner Loop Header: Depth=2
	global_load_b64 v[2:3], v0, s[4:5] scope:SCOPE_SYS
	s_wait_loadcnt 0x0
	v_cmp_ne_u64_e32 vcc_lo, s[10:11], v[2:3]
	s_cbranch_vccnz .LBB0_4176
; %bb.4177:                             ;   in Loop: Header=BB0_2003 Depth=1
	s_add_co_i32 s10, s8, 0x43f
	s_mov_b32 s11, s9
	s_delay_alu instid0(SALU_CYCLE_1)
	v_mov_b64_e32 v[2:3], s[10:11]
	s_wait_xcnt 0x0
	global_store_b64 v0, v[2:3], s[6:7] scope:SCOPE_SYS
.LBB0_4178:                             ;   Parent Loop BB0_2003 Depth=1
                                        ; =>  This Inner Loop Header: Depth=2
	global_load_b64 v[2:3], v0, s[4:5] scope:SCOPE_SYS
	s_wait_loadcnt 0x0
	v_cmp_ne_u64_e32 vcc_lo, s[10:11], v[2:3]
	s_cbranch_vccnz .LBB0_4178
; %bb.4179:                             ;   in Loop: Header=BB0_2003 Depth=1
	s_add_co_i32 s10, s8, 0x440
	s_mov_b32 s11, s9
	s_delay_alu instid0(SALU_CYCLE_1)
	v_mov_b64_e32 v[2:3], s[10:11]
	s_wait_xcnt 0x0
	global_store_b64 v0, v[2:3], s[6:7] scope:SCOPE_SYS
.LBB0_4180:                             ;   Parent Loop BB0_2003 Depth=1
                                        ; =>  This Inner Loop Header: Depth=2
	global_load_b64 v[2:3], v0, s[4:5] scope:SCOPE_SYS
	s_wait_loadcnt 0x0
	v_cmp_ne_u64_e32 vcc_lo, s[10:11], v[2:3]
	s_cbranch_vccnz .LBB0_4180
; %bb.4181:                             ;   in Loop: Header=BB0_2003 Depth=1
	s_add_co_i32 s10, s8, 0x441
	s_mov_b32 s11, s9
	s_delay_alu instid0(SALU_CYCLE_1)
	v_mov_b64_e32 v[2:3], s[10:11]
	s_wait_xcnt 0x0
	global_store_b64 v0, v[2:3], s[6:7] scope:SCOPE_SYS
.LBB0_4182:                             ;   Parent Loop BB0_2003 Depth=1
                                        ; =>  This Inner Loop Header: Depth=2
	global_load_b64 v[2:3], v0, s[4:5] scope:SCOPE_SYS
	s_wait_loadcnt 0x0
	v_cmp_ne_u64_e32 vcc_lo, s[10:11], v[2:3]
	s_cbranch_vccnz .LBB0_4182
; %bb.4183:                             ;   in Loop: Header=BB0_2003 Depth=1
	s_add_co_i32 s10, s8, 0x442
	s_mov_b32 s11, s9
	s_delay_alu instid0(SALU_CYCLE_1)
	v_mov_b64_e32 v[2:3], s[10:11]
	s_wait_xcnt 0x0
	global_store_b64 v0, v[2:3], s[6:7] scope:SCOPE_SYS
.LBB0_4184:                             ;   Parent Loop BB0_2003 Depth=1
                                        ; =>  This Inner Loop Header: Depth=2
	global_load_b64 v[2:3], v0, s[4:5] scope:SCOPE_SYS
	s_wait_loadcnt 0x0
	v_cmp_ne_u64_e32 vcc_lo, s[10:11], v[2:3]
	s_cbranch_vccnz .LBB0_4184
; %bb.4185:                             ;   in Loop: Header=BB0_2003 Depth=1
	s_add_co_i32 s10, s8, 0x443
	s_mov_b32 s11, s9
	s_delay_alu instid0(SALU_CYCLE_1)
	v_mov_b64_e32 v[2:3], s[10:11]
	s_wait_xcnt 0x0
	global_store_b64 v0, v[2:3], s[6:7] scope:SCOPE_SYS
.LBB0_4186:                             ;   Parent Loop BB0_2003 Depth=1
                                        ; =>  This Inner Loop Header: Depth=2
	global_load_b64 v[2:3], v0, s[4:5] scope:SCOPE_SYS
	s_wait_loadcnt 0x0
	v_cmp_ne_u64_e32 vcc_lo, s[10:11], v[2:3]
	s_cbranch_vccnz .LBB0_4186
; %bb.4187:                             ;   in Loop: Header=BB0_2003 Depth=1
	s_add_co_i32 s10, s8, 0x444
	s_mov_b32 s11, s9
	s_delay_alu instid0(SALU_CYCLE_1)
	v_mov_b64_e32 v[2:3], s[10:11]
	s_wait_xcnt 0x0
	global_store_b64 v0, v[2:3], s[6:7] scope:SCOPE_SYS
.LBB0_4188:                             ;   Parent Loop BB0_2003 Depth=1
                                        ; =>  This Inner Loop Header: Depth=2
	global_load_b64 v[2:3], v0, s[4:5] scope:SCOPE_SYS
	s_wait_loadcnt 0x0
	v_cmp_ne_u64_e32 vcc_lo, s[10:11], v[2:3]
	s_cbranch_vccnz .LBB0_4188
; %bb.4189:                             ;   in Loop: Header=BB0_2003 Depth=1
	s_add_co_i32 s10, s8, 0x445
	s_mov_b32 s11, s9
	s_delay_alu instid0(SALU_CYCLE_1)
	v_mov_b64_e32 v[2:3], s[10:11]
	s_wait_xcnt 0x0
	global_store_b64 v0, v[2:3], s[6:7] scope:SCOPE_SYS
.LBB0_4190:                             ;   Parent Loop BB0_2003 Depth=1
                                        ; =>  This Inner Loop Header: Depth=2
	global_load_b64 v[2:3], v0, s[4:5] scope:SCOPE_SYS
	s_wait_loadcnt 0x0
	v_cmp_ne_u64_e32 vcc_lo, s[10:11], v[2:3]
	s_cbranch_vccnz .LBB0_4190
; %bb.4191:                             ;   in Loop: Header=BB0_2003 Depth=1
	s_add_co_i32 s10, s8, 0x446
	s_mov_b32 s11, s9
	s_delay_alu instid0(SALU_CYCLE_1)
	v_mov_b64_e32 v[2:3], s[10:11]
	s_wait_xcnt 0x0
	global_store_b64 v0, v[2:3], s[6:7] scope:SCOPE_SYS
.LBB0_4192:                             ;   Parent Loop BB0_2003 Depth=1
                                        ; =>  This Inner Loop Header: Depth=2
	global_load_b64 v[2:3], v0, s[4:5] scope:SCOPE_SYS
	s_wait_loadcnt 0x0
	v_cmp_ne_u64_e32 vcc_lo, s[10:11], v[2:3]
	s_cbranch_vccnz .LBB0_4192
; %bb.4193:                             ;   in Loop: Header=BB0_2003 Depth=1
	s_add_co_i32 s10, s8, 0x447
	s_mov_b32 s11, s9
	s_delay_alu instid0(SALU_CYCLE_1)
	v_mov_b64_e32 v[2:3], s[10:11]
	s_wait_xcnt 0x0
	global_store_b64 v0, v[2:3], s[6:7] scope:SCOPE_SYS
.LBB0_4194:                             ;   Parent Loop BB0_2003 Depth=1
                                        ; =>  This Inner Loop Header: Depth=2
	global_load_b64 v[2:3], v0, s[4:5] scope:SCOPE_SYS
	s_wait_loadcnt 0x0
	v_cmp_ne_u64_e32 vcc_lo, s[10:11], v[2:3]
	s_cbranch_vccnz .LBB0_4194
; %bb.4195:                             ;   in Loop: Header=BB0_2003 Depth=1
	s_add_co_i32 s10, s8, 0x448
	s_mov_b32 s11, s9
	s_delay_alu instid0(SALU_CYCLE_1)
	v_mov_b64_e32 v[2:3], s[10:11]
	s_wait_xcnt 0x0
	global_store_b64 v0, v[2:3], s[6:7] scope:SCOPE_SYS
.LBB0_4196:                             ;   Parent Loop BB0_2003 Depth=1
                                        ; =>  This Inner Loop Header: Depth=2
	global_load_b64 v[2:3], v0, s[4:5] scope:SCOPE_SYS
	s_wait_loadcnt 0x0
	v_cmp_ne_u64_e32 vcc_lo, s[10:11], v[2:3]
	s_cbranch_vccnz .LBB0_4196
; %bb.4197:                             ;   in Loop: Header=BB0_2003 Depth=1
	s_add_co_i32 s10, s8, 0x449
	s_mov_b32 s11, s9
	s_delay_alu instid0(SALU_CYCLE_1)
	v_mov_b64_e32 v[2:3], s[10:11]
	s_wait_xcnt 0x0
	global_store_b64 v0, v[2:3], s[6:7] scope:SCOPE_SYS
.LBB0_4198:                             ;   Parent Loop BB0_2003 Depth=1
                                        ; =>  This Inner Loop Header: Depth=2
	global_load_b64 v[2:3], v0, s[4:5] scope:SCOPE_SYS
	s_wait_loadcnt 0x0
	v_cmp_ne_u64_e32 vcc_lo, s[10:11], v[2:3]
	s_cbranch_vccnz .LBB0_4198
; %bb.4199:                             ;   in Loop: Header=BB0_2003 Depth=1
	s_add_co_i32 s10, s8, 0x44a
	s_mov_b32 s11, s9
	s_delay_alu instid0(SALU_CYCLE_1)
	v_mov_b64_e32 v[2:3], s[10:11]
	s_wait_xcnt 0x0
	global_store_b64 v0, v[2:3], s[6:7] scope:SCOPE_SYS
.LBB0_4200:                             ;   Parent Loop BB0_2003 Depth=1
                                        ; =>  This Inner Loop Header: Depth=2
	global_load_b64 v[2:3], v0, s[4:5] scope:SCOPE_SYS
	s_wait_loadcnt 0x0
	v_cmp_ne_u64_e32 vcc_lo, s[10:11], v[2:3]
	s_cbranch_vccnz .LBB0_4200
; %bb.4201:                             ;   in Loop: Header=BB0_2003 Depth=1
	s_add_co_i32 s10, s8, 0x44b
	s_mov_b32 s11, s9
	s_delay_alu instid0(SALU_CYCLE_1)
	v_mov_b64_e32 v[2:3], s[10:11]
	s_wait_xcnt 0x0
	global_store_b64 v0, v[2:3], s[6:7] scope:SCOPE_SYS
.LBB0_4202:                             ;   Parent Loop BB0_2003 Depth=1
                                        ; =>  This Inner Loop Header: Depth=2
	global_load_b64 v[2:3], v0, s[4:5] scope:SCOPE_SYS
	s_wait_loadcnt 0x0
	v_cmp_ne_u64_e32 vcc_lo, s[10:11], v[2:3]
	s_cbranch_vccnz .LBB0_4202
; %bb.4203:                             ;   in Loop: Header=BB0_2003 Depth=1
	s_add_co_i32 s10, s8, 0x44c
	s_mov_b32 s11, s9
	s_delay_alu instid0(SALU_CYCLE_1)
	v_mov_b64_e32 v[2:3], s[10:11]
	s_wait_xcnt 0x0
	global_store_b64 v0, v[2:3], s[6:7] scope:SCOPE_SYS
.LBB0_4204:                             ;   Parent Loop BB0_2003 Depth=1
                                        ; =>  This Inner Loop Header: Depth=2
	global_load_b64 v[2:3], v0, s[4:5] scope:SCOPE_SYS
	s_wait_loadcnt 0x0
	v_cmp_ne_u64_e32 vcc_lo, s[10:11], v[2:3]
	s_cbranch_vccnz .LBB0_4204
; %bb.4205:                             ;   in Loop: Header=BB0_2003 Depth=1
	s_add_co_i32 s10, s8, 0x44d
	s_mov_b32 s11, s9
	s_delay_alu instid0(SALU_CYCLE_1)
	v_mov_b64_e32 v[2:3], s[10:11]
	s_wait_xcnt 0x0
	global_store_b64 v0, v[2:3], s[6:7] scope:SCOPE_SYS
.LBB0_4206:                             ;   Parent Loop BB0_2003 Depth=1
                                        ; =>  This Inner Loop Header: Depth=2
	global_load_b64 v[2:3], v0, s[4:5] scope:SCOPE_SYS
	s_wait_loadcnt 0x0
	v_cmp_ne_u64_e32 vcc_lo, s[10:11], v[2:3]
	s_cbranch_vccnz .LBB0_4206
; %bb.4207:                             ;   in Loop: Header=BB0_2003 Depth=1
	s_add_co_i32 s10, s8, 0x44e
	s_mov_b32 s11, s9
	s_delay_alu instid0(SALU_CYCLE_1)
	v_mov_b64_e32 v[2:3], s[10:11]
	s_wait_xcnt 0x0
	global_store_b64 v0, v[2:3], s[6:7] scope:SCOPE_SYS
.LBB0_4208:                             ;   Parent Loop BB0_2003 Depth=1
                                        ; =>  This Inner Loop Header: Depth=2
	global_load_b64 v[2:3], v0, s[4:5] scope:SCOPE_SYS
	s_wait_loadcnt 0x0
	v_cmp_ne_u64_e32 vcc_lo, s[10:11], v[2:3]
	s_cbranch_vccnz .LBB0_4208
; %bb.4209:                             ;   in Loop: Header=BB0_2003 Depth=1
	s_add_co_i32 s10, s8, 0x44f
	s_mov_b32 s11, s9
	s_delay_alu instid0(SALU_CYCLE_1)
	v_mov_b64_e32 v[2:3], s[10:11]
	s_wait_xcnt 0x0
	global_store_b64 v0, v[2:3], s[6:7] scope:SCOPE_SYS
.LBB0_4210:                             ;   Parent Loop BB0_2003 Depth=1
                                        ; =>  This Inner Loop Header: Depth=2
	global_load_b64 v[2:3], v0, s[4:5] scope:SCOPE_SYS
	s_wait_loadcnt 0x0
	v_cmp_ne_u64_e32 vcc_lo, s[10:11], v[2:3]
	s_cbranch_vccnz .LBB0_4210
; %bb.4211:                             ;   in Loop: Header=BB0_2003 Depth=1
	s_add_co_i32 s10, s8, 0x450
	s_mov_b32 s11, s9
	s_delay_alu instid0(SALU_CYCLE_1)
	v_mov_b64_e32 v[2:3], s[10:11]
	s_wait_xcnt 0x0
	global_store_b64 v0, v[2:3], s[6:7] scope:SCOPE_SYS
.LBB0_4212:                             ;   Parent Loop BB0_2003 Depth=1
                                        ; =>  This Inner Loop Header: Depth=2
	global_load_b64 v[2:3], v0, s[4:5] scope:SCOPE_SYS
	s_wait_loadcnt 0x0
	v_cmp_ne_u64_e32 vcc_lo, s[10:11], v[2:3]
	s_cbranch_vccnz .LBB0_4212
; %bb.4213:                             ;   in Loop: Header=BB0_2003 Depth=1
	s_add_co_i32 s10, s8, 0x451
	s_mov_b32 s11, s9
	s_delay_alu instid0(SALU_CYCLE_1)
	v_mov_b64_e32 v[2:3], s[10:11]
	s_wait_xcnt 0x0
	global_store_b64 v0, v[2:3], s[6:7] scope:SCOPE_SYS
.LBB0_4214:                             ;   Parent Loop BB0_2003 Depth=1
                                        ; =>  This Inner Loop Header: Depth=2
	global_load_b64 v[2:3], v0, s[4:5] scope:SCOPE_SYS
	s_wait_loadcnt 0x0
	v_cmp_ne_u64_e32 vcc_lo, s[10:11], v[2:3]
	s_cbranch_vccnz .LBB0_4214
; %bb.4215:                             ;   in Loop: Header=BB0_2003 Depth=1
	s_add_co_i32 s10, s8, 0x452
	s_mov_b32 s11, s9
	s_delay_alu instid0(SALU_CYCLE_1)
	v_mov_b64_e32 v[2:3], s[10:11]
	s_wait_xcnt 0x0
	global_store_b64 v0, v[2:3], s[6:7] scope:SCOPE_SYS
.LBB0_4216:                             ;   Parent Loop BB0_2003 Depth=1
                                        ; =>  This Inner Loop Header: Depth=2
	global_load_b64 v[2:3], v0, s[4:5] scope:SCOPE_SYS
	s_wait_loadcnt 0x0
	v_cmp_ne_u64_e32 vcc_lo, s[10:11], v[2:3]
	s_cbranch_vccnz .LBB0_4216
; %bb.4217:                             ;   in Loop: Header=BB0_2003 Depth=1
	s_add_co_i32 s10, s8, 0x453
	s_mov_b32 s11, s9
	s_delay_alu instid0(SALU_CYCLE_1)
	v_mov_b64_e32 v[2:3], s[10:11]
	s_wait_xcnt 0x0
	global_store_b64 v0, v[2:3], s[6:7] scope:SCOPE_SYS
.LBB0_4218:                             ;   Parent Loop BB0_2003 Depth=1
                                        ; =>  This Inner Loop Header: Depth=2
	global_load_b64 v[2:3], v0, s[4:5] scope:SCOPE_SYS
	s_wait_loadcnt 0x0
	v_cmp_ne_u64_e32 vcc_lo, s[10:11], v[2:3]
	s_cbranch_vccnz .LBB0_4218
; %bb.4219:                             ;   in Loop: Header=BB0_2003 Depth=1
	s_add_co_i32 s10, s8, 0x454
	s_mov_b32 s11, s9
	s_delay_alu instid0(SALU_CYCLE_1)
	v_mov_b64_e32 v[2:3], s[10:11]
	s_wait_xcnt 0x0
	global_store_b64 v0, v[2:3], s[6:7] scope:SCOPE_SYS
.LBB0_4220:                             ;   Parent Loop BB0_2003 Depth=1
                                        ; =>  This Inner Loop Header: Depth=2
	global_load_b64 v[2:3], v0, s[4:5] scope:SCOPE_SYS
	s_wait_loadcnt 0x0
	v_cmp_ne_u64_e32 vcc_lo, s[10:11], v[2:3]
	s_cbranch_vccnz .LBB0_4220
; %bb.4221:                             ;   in Loop: Header=BB0_2003 Depth=1
	s_add_co_i32 s10, s8, 0x455
	s_mov_b32 s11, s9
	s_delay_alu instid0(SALU_CYCLE_1)
	v_mov_b64_e32 v[2:3], s[10:11]
	s_wait_xcnt 0x0
	global_store_b64 v0, v[2:3], s[6:7] scope:SCOPE_SYS
.LBB0_4222:                             ;   Parent Loop BB0_2003 Depth=1
                                        ; =>  This Inner Loop Header: Depth=2
	global_load_b64 v[2:3], v0, s[4:5] scope:SCOPE_SYS
	s_wait_loadcnt 0x0
	v_cmp_ne_u64_e32 vcc_lo, s[10:11], v[2:3]
	s_cbranch_vccnz .LBB0_4222
; %bb.4223:                             ;   in Loop: Header=BB0_2003 Depth=1
	s_add_co_i32 s10, s8, 0x456
	s_mov_b32 s11, s9
	s_delay_alu instid0(SALU_CYCLE_1)
	v_mov_b64_e32 v[2:3], s[10:11]
	s_wait_xcnt 0x0
	global_store_b64 v0, v[2:3], s[6:7] scope:SCOPE_SYS
.LBB0_4224:                             ;   Parent Loop BB0_2003 Depth=1
                                        ; =>  This Inner Loop Header: Depth=2
	global_load_b64 v[2:3], v0, s[4:5] scope:SCOPE_SYS
	s_wait_loadcnt 0x0
	v_cmp_ne_u64_e32 vcc_lo, s[10:11], v[2:3]
	s_cbranch_vccnz .LBB0_4224
; %bb.4225:                             ;   in Loop: Header=BB0_2003 Depth=1
	s_add_co_i32 s10, s8, 0x457
	s_mov_b32 s11, s9
	s_delay_alu instid0(SALU_CYCLE_1)
	v_mov_b64_e32 v[2:3], s[10:11]
	s_wait_xcnt 0x0
	global_store_b64 v0, v[2:3], s[6:7] scope:SCOPE_SYS
.LBB0_4226:                             ;   Parent Loop BB0_2003 Depth=1
                                        ; =>  This Inner Loop Header: Depth=2
	global_load_b64 v[2:3], v0, s[4:5] scope:SCOPE_SYS
	s_wait_loadcnt 0x0
	v_cmp_ne_u64_e32 vcc_lo, s[10:11], v[2:3]
	s_cbranch_vccnz .LBB0_4226
; %bb.4227:                             ;   in Loop: Header=BB0_2003 Depth=1
	s_add_co_i32 s10, s8, 0x458
	s_mov_b32 s11, s9
	s_delay_alu instid0(SALU_CYCLE_1)
	v_mov_b64_e32 v[2:3], s[10:11]
	s_wait_xcnt 0x0
	global_store_b64 v0, v[2:3], s[6:7] scope:SCOPE_SYS
.LBB0_4228:                             ;   Parent Loop BB0_2003 Depth=1
                                        ; =>  This Inner Loop Header: Depth=2
	global_load_b64 v[2:3], v0, s[4:5] scope:SCOPE_SYS
	s_wait_loadcnt 0x0
	v_cmp_ne_u64_e32 vcc_lo, s[10:11], v[2:3]
	s_cbranch_vccnz .LBB0_4228
; %bb.4229:                             ;   in Loop: Header=BB0_2003 Depth=1
	s_add_co_i32 s10, s8, 0x459
	s_mov_b32 s11, s9
	s_delay_alu instid0(SALU_CYCLE_1)
	v_mov_b64_e32 v[2:3], s[10:11]
	s_wait_xcnt 0x0
	global_store_b64 v0, v[2:3], s[6:7] scope:SCOPE_SYS
.LBB0_4230:                             ;   Parent Loop BB0_2003 Depth=1
                                        ; =>  This Inner Loop Header: Depth=2
	global_load_b64 v[2:3], v0, s[4:5] scope:SCOPE_SYS
	s_wait_loadcnt 0x0
	v_cmp_ne_u64_e32 vcc_lo, s[10:11], v[2:3]
	s_cbranch_vccnz .LBB0_4230
; %bb.4231:                             ;   in Loop: Header=BB0_2003 Depth=1
	s_add_co_i32 s10, s8, 0x45a
	s_mov_b32 s11, s9
	s_delay_alu instid0(SALU_CYCLE_1)
	v_mov_b64_e32 v[2:3], s[10:11]
	s_wait_xcnt 0x0
	global_store_b64 v0, v[2:3], s[6:7] scope:SCOPE_SYS
.LBB0_4232:                             ;   Parent Loop BB0_2003 Depth=1
                                        ; =>  This Inner Loop Header: Depth=2
	global_load_b64 v[2:3], v0, s[4:5] scope:SCOPE_SYS
	s_wait_loadcnt 0x0
	v_cmp_ne_u64_e32 vcc_lo, s[10:11], v[2:3]
	s_cbranch_vccnz .LBB0_4232
; %bb.4233:                             ;   in Loop: Header=BB0_2003 Depth=1
	s_add_co_i32 s10, s8, 0x45b
	s_mov_b32 s11, s9
	s_delay_alu instid0(SALU_CYCLE_1)
	v_mov_b64_e32 v[2:3], s[10:11]
	s_wait_xcnt 0x0
	global_store_b64 v0, v[2:3], s[6:7] scope:SCOPE_SYS
.LBB0_4234:                             ;   Parent Loop BB0_2003 Depth=1
                                        ; =>  This Inner Loop Header: Depth=2
	global_load_b64 v[2:3], v0, s[4:5] scope:SCOPE_SYS
	s_wait_loadcnt 0x0
	v_cmp_ne_u64_e32 vcc_lo, s[10:11], v[2:3]
	s_cbranch_vccnz .LBB0_4234
; %bb.4235:                             ;   in Loop: Header=BB0_2003 Depth=1
	s_add_co_i32 s10, s8, 0x45c
	s_mov_b32 s11, s9
	s_delay_alu instid0(SALU_CYCLE_1)
	v_mov_b64_e32 v[2:3], s[10:11]
	s_wait_xcnt 0x0
	global_store_b64 v0, v[2:3], s[6:7] scope:SCOPE_SYS
.LBB0_4236:                             ;   Parent Loop BB0_2003 Depth=1
                                        ; =>  This Inner Loop Header: Depth=2
	global_load_b64 v[2:3], v0, s[4:5] scope:SCOPE_SYS
	s_wait_loadcnt 0x0
	v_cmp_ne_u64_e32 vcc_lo, s[10:11], v[2:3]
	s_cbranch_vccnz .LBB0_4236
; %bb.4237:                             ;   in Loop: Header=BB0_2003 Depth=1
	s_add_co_i32 s10, s8, 0x45d
	s_mov_b32 s11, s9
	s_delay_alu instid0(SALU_CYCLE_1)
	v_mov_b64_e32 v[2:3], s[10:11]
	s_wait_xcnt 0x0
	global_store_b64 v0, v[2:3], s[6:7] scope:SCOPE_SYS
.LBB0_4238:                             ;   Parent Loop BB0_2003 Depth=1
                                        ; =>  This Inner Loop Header: Depth=2
	global_load_b64 v[2:3], v0, s[4:5] scope:SCOPE_SYS
	s_wait_loadcnt 0x0
	v_cmp_ne_u64_e32 vcc_lo, s[10:11], v[2:3]
	s_cbranch_vccnz .LBB0_4238
; %bb.4239:                             ;   in Loop: Header=BB0_2003 Depth=1
	s_add_co_i32 s10, s8, 0x45e
	s_mov_b32 s11, s9
	s_delay_alu instid0(SALU_CYCLE_1)
	v_mov_b64_e32 v[2:3], s[10:11]
	s_wait_xcnt 0x0
	global_store_b64 v0, v[2:3], s[6:7] scope:SCOPE_SYS
.LBB0_4240:                             ;   Parent Loop BB0_2003 Depth=1
                                        ; =>  This Inner Loop Header: Depth=2
	global_load_b64 v[2:3], v0, s[4:5] scope:SCOPE_SYS
	s_wait_loadcnt 0x0
	v_cmp_ne_u64_e32 vcc_lo, s[10:11], v[2:3]
	s_cbranch_vccnz .LBB0_4240
; %bb.4241:                             ;   in Loop: Header=BB0_2003 Depth=1
	s_add_co_i32 s10, s8, 0x45f
	s_mov_b32 s11, s9
	s_delay_alu instid0(SALU_CYCLE_1)
	v_mov_b64_e32 v[2:3], s[10:11]
	s_wait_xcnt 0x0
	global_store_b64 v0, v[2:3], s[6:7] scope:SCOPE_SYS
.LBB0_4242:                             ;   Parent Loop BB0_2003 Depth=1
                                        ; =>  This Inner Loop Header: Depth=2
	global_load_b64 v[2:3], v0, s[4:5] scope:SCOPE_SYS
	s_wait_loadcnt 0x0
	v_cmp_ne_u64_e32 vcc_lo, s[10:11], v[2:3]
	s_cbranch_vccnz .LBB0_4242
; %bb.4243:                             ;   in Loop: Header=BB0_2003 Depth=1
	s_add_co_i32 s10, s8, 0x460
	s_mov_b32 s11, s9
	s_delay_alu instid0(SALU_CYCLE_1)
	v_mov_b64_e32 v[2:3], s[10:11]
	s_wait_xcnt 0x0
	global_store_b64 v0, v[2:3], s[6:7] scope:SCOPE_SYS
.LBB0_4244:                             ;   Parent Loop BB0_2003 Depth=1
                                        ; =>  This Inner Loop Header: Depth=2
	global_load_b64 v[2:3], v0, s[4:5] scope:SCOPE_SYS
	s_wait_loadcnt 0x0
	v_cmp_ne_u64_e32 vcc_lo, s[10:11], v[2:3]
	s_cbranch_vccnz .LBB0_4244
; %bb.4245:                             ;   in Loop: Header=BB0_2003 Depth=1
	s_add_co_i32 s10, s8, 0x461
	s_mov_b32 s11, s9
	s_delay_alu instid0(SALU_CYCLE_1)
	v_mov_b64_e32 v[2:3], s[10:11]
	s_wait_xcnt 0x0
	global_store_b64 v0, v[2:3], s[6:7] scope:SCOPE_SYS
.LBB0_4246:                             ;   Parent Loop BB0_2003 Depth=1
                                        ; =>  This Inner Loop Header: Depth=2
	global_load_b64 v[2:3], v0, s[4:5] scope:SCOPE_SYS
	s_wait_loadcnt 0x0
	v_cmp_ne_u64_e32 vcc_lo, s[10:11], v[2:3]
	s_cbranch_vccnz .LBB0_4246
; %bb.4247:                             ;   in Loop: Header=BB0_2003 Depth=1
	s_add_co_i32 s10, s8, 0x462
	s_mov_b32 s11, s9
	s_delay_alu instid0(SALU_CYCLE_1)
	v_mov_b64_e32 v[2:3], s[10:11]
	s_wait_xcnt 0x0
	global_store_b64 v0, v[2:3], s[6:7] scope:SCOPE_SYS
.LBB0_4248:                             ;   Parent Loop BB0_2003 Depth=1
                                        ; =>  This Inner Loop Header: Depth=2
	global_load_b64 v[2:3], v0, s[4:5] scope:SCOPE_SYS
	s_wait_loadcnt 0x0
	v_cmp_ne_u64_e32 vcc_lo, s[10:11], v[2:3]
	s_cbranch_vccnz .LBB0_4248
; %bb.4249:                             ;   in Loop: Header=BB0_2003 Depth=1
	s_add_co_i32 s10, s8, 0x463
	s_mov_b32 s11, s9
	s_delay_alu instid0(SALU_CYCLE_1)
	v_mov_b64_e32 v[2:3], s[10:11]
	s_wait_xcnt 0x0
	global_store_b64 v0, v[2:3], s[6:7] scope:SCOPE_SYS
.LBB0_4250:                             ;   Parent Loop BB0_2003 Depth=1
                                        ; =>  This Inner Loop Header: Depth=2
	global_load_b64 v[2:3], v0, s[4:5] scope:SCOPE_SYS
	s_wait_loadcnt 0x0
	v_cmp_ne_u64_e32 vcc_lo, s[10:11], v[2:3]
	s_cbranch_vccnz .LBB0_4250
; %bb.4251:                             ;   in Loop: Header=BB0_2003 Depth=1
	s_add_co_i32 s10, s8, 0x464
	s_mov_b32 s11, s9
	s_delay_alu instid0(SALU_CYCLE_1)
	v_mov_b64_e32 v[2:3], s[10:11]
	s_wait_xcnt 0x0
	global_store_b64 v0, v[2:3], s[6:7] scope:SCOPE_SYS
.LBB0_4252:                             ;   Parent Loop BB0_2003 Depth=1
                                        ; =>  This Inner Loop Header: Depth=2
	global_load_b64 v[2:3], v0, s[4:5] scope:SCOPE_SYS
	s_wait_loadcnt 0x0
	v_cmp_ne_u64_e32 vcc_lo, s[10:11], v[2:3]
	s_cbranch_vccnz .LBB0_4252
; %bb.4253:                             ;   in Loop: Header=BB0_2003 Depth=1
	s_add_co_i32 s10, s8, 0x465
	s_mov_b32 s11, s9
	s_delay_alu instid0(SALU_CYCLE_1)
	v_mov_b64_e32 v[2:3], s[10:11]
	s_wait_xcnt 0x0
	global_store_b64 v0, v[2:3], s[6:7] scope:SCOPE_SYS
.LBB0_4254:                             ;   Parent Loop BB0_2003 Depth=1
                                        ; =>  This Inner Loop Header: Depth=2
	global_load_b64 v[2:3], v0, s[4:5] scope:SCOPE_SYS
	s_wait_loadcnt 0x0
	v_cmp_ne_u64_e32 vcc_lo, s[10:11], v[2:3]
	s_cbranch_vccnz .LBB0_4254
; %bb.4255:                             ;   in Loop: Header=BB0_2003 Depth=1
	s_add_co_i32 s10, s8, 0x466
	s_mov_b32 s11, s9
	s_delay_alu instid0(SALU_CYCLE_1)
	v_mov_b64_e32 v[2:3], s[10:11]
	s_wait_xcnt 0x0
	global_store_b64 v0, v[2:3], s[6:7] scope:SCOPE_SYS
.LBB0_4256:                             ;   Parent Loop BB0_2003 Depth=1
                                        ; =>  This Inner Loop Header: Depth=2
	global_load_b64 v[2:3], v0, s[4:5] scope:SCOPE_SYS
	s_wait_loadcnt 0x0
	v_cmp_ne_u64_e32 vcc_lo, s[10:11], v[2:3]
	s_cbranch_vccnz .LBB0_4256
; %bb.4257:                             ;   in Loop: Header=BB0_2003 Depth=1
	s_add_co_i32 s10, s8, 0x467
	s_mov_b32 s11, s9
	s_delay_alu instid0(SALU_CYCLE_1)
	v_mov_b64_e32 v[2:3], s[10:11]
	s_wait_xcnt 0x0
	global_store_b64 v0, v[2:3], s[6:7] scope:SCOPE_SYS
.LBB0_4258:                             ;   Parent Loop BB0_2003 Depth=1
                                        ; =>  This Inner Loop Header: Depth=2
	global_load_b64 v[2:3], v0, s[4:5] scope:SCOPE_SYS
	s_wait_loadcnt 0x0
	v_cmp_ne_u64_e32 vcc_lo, s[10:11], v[2:3]
	s_cbranch_vccnz .LBB0_4258
; %bb.4259:                             ;   in Loop: Header=BB0_2003 Depth=1
	s_add_co_i32 s10, s8, 0x468
	s_mov_b32 s11, s9
	s_delay_alu instid0(SALU_CYCLE_1)
	v_mov_b64_e32 v[2:3], s[10:11]
	s_wait_xcnt 0x0
	global_store_b64 v0, v[2:3], s[6:7] scope:SCOPE_SYS
.LBB0_4260:                             ;   Parent Loop BB0_2003 Depth=1
                                        ; =>  This Inner Loop Header: Depth=2
	global_load_b64 v[2:3], v0, s[4:5] scope:SCOPE_SYS
	s_wait_loadcnt 0x0
	v_cmp_ne_u64_e32 vcc_lo, s[10:11], v[2:3]
	s_cbranch_vccnz .LBB0_4260
; %bb.4261:                             ;   in Loop: Header=BB0_2003 Depth=1
	s_add_co_i32 s10, s8, 0x469
	s_mov_b32 s11, s9
	s_delay_alu instid0(SALU_CYCLE_1)
	v_mov_b64_e32 v[2:3], s[10:11]
	s_wait_xcnt 0x0
	global_store_b64 v0, v[2:3], s[6:7] scope:SCOPE_SYS
.LBB0_4262:                             ;   Parent Loop BB0_2003 Depth=1
                                        ; =>  This Inner Loop Header: Depth=2
	global_load_b64 v[2:3], v0, s[4:5] scope:SCOPE_SYS
	s_wait_loadcnt 0x0
	v_cmp_ne_u64_e32 vcc_lo, s[10:11], v[2:3]
	s_cbranch_vccnz .LBB0_4262
; %bb.4263:                             ;   in Loop: Header=BB0_2003 Depth=1
	s_add_co_i32 s10, s8, 0x46a
	s_mov_b32 s11, s9
	s_delay_alu instid0(SALU_CYCLE_1)
	v_mov_b64_e32 v[2:3], s[10:11]
	s_wait_xcnt 0x0
	global_store_b64 v0, v[2:3], s[6:7] scope:SCOPE_SYS
.LBB0_4264:                             ;   Parent Loop BB0_2003 Depth=1
                                        ; =>  This Inner Loop Header: Depth=2
	global_load_b64 v[2:3], v0, s[4:5] scope:SCOPE_SYS
	s_wait_loadcnt 0x0
	v_cmp_ne_u64_e32 vcc_lo, s[10:11], v[2:3]
	s_cbranch_vccnz .LBB0_4264
; %bb.4265:                             ;   in Loop: Header=BB0_2003 Depth=1
	s_add_co_i32 s10, s8, 0x46b
	s_mov_b32 s11, s9
	s_delay_alu instid0(SALU_CYCLE_1)
	v_mov_b64_e32 v[2:3], s[10:11]
	s_wait_xcnt 0x0
	global_store_b64 v0, v[2:3], s[6:7] scope:SCOPE_SYS
.LBB0_4266:                             ;   Parent Loop BB0_2003 Depth=1
                                        ; =>  This Inner Loop Header: Depth=2
	global_load_b64 v[2:3], v0, s[4:5] scope:SCOPE_SYS
	s_wait_loadcnt 0x0
	v_cmp_ne_u64_e32 vcc_lo, s[10:11], v[2:3]
	s_cbranch_vccnz .LBB0_4266
; %bb.4267:                             ;   in Loop: Header=BB0_2003 Depth=1
	s_add_co_i32 s10, s8, 0x46c
	s_mov_b32 s11, s9
	s_delay_alu instid0(SALU_CYCLE_1)
	v_mov_b64_e32 v[2:3], s[10:11]
	s_wait_xcnt 0x0
	global_store_b64 v0, v[2:3], s[6:7] scope:SCOPE_SYS
.LBB0_4268:                             ;   Parent Loop BB0_2003 Depth=1
                                        ; =>  This Inner Loop Header: Depth=2
	global_load_b64 v[2:3], v0, s[4:5] scope:SCOPE_SYS
	s_wait_loadcnt 0x0
	v_cmp_ne_u64_e32 vcc_lo, s[10:11], v[2:3]
	s_cbranch_vccnz .LBB0_4268
; %bb.4269:                             ;   in Loop: Header=BB0_2003 Depth=1
	s_add_co_i32 s10, s8, 0x46d
	s_mov_b32 s11, s9
	s_delay_alu instid0(SALU_CYCLE_1)
	v_mov_b64_e32 v[2:3], s[10:11]
	s_wait_xcnt 0x0
	global_store_b64 v0, v[2:3], s[6:7] scope:SCOPE_SYS
.LBB0_4270:                             ;   Parent Loop BB0_2003 Depth=1
                                        ; =>  This Inner Loop Header: Depth=2
	global_load_b64 v[2:3], v0, s[4:5] scope:SCOPE_SYS
	s_wait_loadcnt 0x0
	v_cmp_ne_u64_e32 vcc_lo, s[10:11], v[2:3]
	s_cbranch_vccnz .LBB0_4270
; %bb.4271:                             ;   in Loop: Header=BB0_2003 Depth=1
	s_add_co_i32 s10, s8, 0x46e
	s_mov_b32 s11, s9
	s_delay_alu instid0(SALU_CYCLE_1)
	v_mov_b64_e32 v[2:3], s[10:11]
	s_wait_xcnt 0x0
	global_store_b64 v0, v[2:3], s[6:7] scope:SCOPE_SYS
.LBB0_4272:                             ;   Parent Loop BB0_2003 Depth=1
                                        ; =>  This Inner Loop Header: Depth=2
	global_load_b64 v[2:3], v0, s[4:5] scope:SCOPE_SYS
	s_wait_loadcnt 0x0
	v_cmp_ne_u64_e32 vcc_lo, s[10:11], v[2:3]
	s_cbranch_vccnz .LBB0_4272
; %bb.4273:                             ;   in Loop: Header=BB0_2003 Depth=1
	s_add_co_i32 s10, s8, 0x46f
	s_mov_b32 s11, s9
	s_delay_alu instid0(SALU_CYCLE_1)
	v_mov_b64_e32 v[2:3], s[10:11]
	s_wait_xcnt 0x0
	global_store_b64 v0, v[2:3], s[6:7] scope:SCOPE_SYS
.LBB0_4274:                             ;   Parent Loop BB0_2003 Depth=1
                                        ; =>  This Inner Loop Header: Depth=2
	global_load_b64 v[2:3], v0, s[4:5] scope:SCOPE_SYS
	s_wait_loadcnt 0x0
	v_cmp_ne_u64_e32 vcc_lo, s[10:11], v[2:3]
	s_cbranch_vccnz .LBB0_4274
; %bb.4275:                             ;   in Loop: Header=BB0_2003 Depth=1
	s_add_co_i32 s10, s8, 0x470
	s_mov_b32 s11, s9
	s_delay_alu instid0(SALU_CYCLE_1)
	v_mov_b64_e32 v[2:3], s[10:11]
	s_wait_xcnt 0x0
	global_store_b64 v0, v[2:3], s[6:7] scope:SCOPE_SYS
.LBB0_4276:                             ;   Parent Loop BB0_2003 Depth=1
                                        ; =>  This Inner Loop Header: Depth=2
	global_load_b64 v[2:3], v0, s[4:5] scope:SCOPE_SYS
	s_wait_loadcnt 0x0
	v_cmp_ne_u64_e32 vcc_lo, s[10:11], v[2:3]
	s_cbranch_vccnz .LBB0_4276
; %bb.4277:                             ;   in Loop: Header=BB0_2003 Depth=1
	s_add_co_i32 s10, s8, 0x471
	s_mov_b32 s11, s9
	s_delay_alu instid0(SALU_CYCLE_1)
	v_mov_b64_e32 v[2:3], s[10:11]
	s_wait_xcnt 0x0
	global_store_b64 v0, v[2:3], s[6:7] scope:SCOPE_SYS
.LBB0_4278:                             ;   Parent Loop BB0_2003 Depth=1
                                        ; =>  This Inner Loop Header: Depth=2
	global_load_b64 v[2:3], v0, s[4:5] scope:SCOPE_SYS
	s_wait_loadcnt 0x0
	v_cmp_ne_u64_e32 vcc_lo, s[10:11], v[2:3]
	s_cbranch_vccnz .LBB0_4278
; %bb.4279:                             ;   in Loop: Header=BB0_2003 Depth=1
	s_add_co_i32 s10, s8, 0x472
	s_mov_b32 s11, s9
	s_delay_alu instid0(SALU_CYCLE_1)
	v_mov_b64_e32 v[2:3], s[10:11]
	s_wait_xcnt 0x0
	global_store_b64 v0, v[2:3], s[6:7] scope:SCOPE_SYS
.LBB0_4280:                             ;   Parent Loop BB0_2003 Depth=1
                                        ; =>  This Inner Loop Header: Depth=2
	global_load_b64 v[2:3], v0, s[4:5] scope:SCOPE_SYS
	s_wait_loadcnt 0x0
	v_cmp_ne_u64_e32 vcc_lo, s[10:11], v[2:3]
	s_cbranch_vccnz .LBB0_4280
; %bb.4281:                             ;   in Loop: Header=BB0_2003 Depth=1
	s_add_co_i32 s10, s8, 0x473
	s_mov_b32 s11, s9
	s_delay_alu instid0(SALU_CYCLE_1)
	v_mov_b64_e32 v[2:3], s[10:11]
	s_wait_xcnt 0x0
	global_store_b64 v0, v[2:3], s[6:7] scope:SCOPE_SYS
.LBB0_4282:                             ;   Parent Loop BB0_2003 Depth=1
                                        ; =>  This Inner Loop Header: Depth=2
	global_load_b64 v[2:3], v0, s[4:5] scope:SCOPE_SYS
	s_wait_loadcnt 0x0
	v_cmp_ne_u64_e32 vcc_lo, s[10:11], v[2:3]
	s_cbranch_vccnz .LBB0_4282
; %bb.4283:                             ;   in Loop: Header=BB0_2003 Depth=1
	s_add_co_i32 s10, s8, 0x474
	s_mov_b32 s11, s9
	s_delay_alu instid0(SALU_CYCLE_1)
	v_mov_b64_e32 v[2:3], s[10:11]
	s_wait_xcnt 0x0
	global_store_b64 v0, v[2:3], s[6:7] scope:SCOPE_SYS
.LBB0_4284:                             ;   Parent Loop BB0_2003 Depth=1
                                        ; =>  This Inner Loop Header: Depth=2
	global_load_b64 v[2:3], v0, s[4:5] scope:SCOPE_SYS
	s_wait_loadcnt 0x0
	v_cmp_ne_u64_e32 vcc_lo, s[10:11], v[2:3]
	s_cbranch_vccnz .LBB0_4284
; %bb.4285:                             ;   in Loop: Header=BB0_2003 Depth=1
	s_add_co_i32 s10, s8, 0x475
	s_mov_b32 s11, s9
	s_delay_alu instid0(SALU_CYCLE_1)
	v_mov_b64_e32 v[2:3], s[10:11]
	s_wait_xcnt 0x0
	global_store_b64 v0, v[2:3], s[6:7] scope:SCOPE_SYS
.LBB0_4286:                             ;   Parent Loop BB0_2003 Depth=1
                                        ; =>  This Inner Loop Header: Depth=2
	global_load_b64 v[2:3], v0, s[4:5] scope:SCOPE_SYS
	s_wait_loadcnt 0x0
	v_cmp_ne_u64_e32 vcc_lo, s[10:11], v[2:3]
	s_cbranch_vccnz .LBB0_4286
; %bb.4287:                             ;   in Loop: Header=BB0_2003 Depth=1
	s_add_co_i32 s10, s8, 0x476
	s_mov_b32 s11, s9
	s_delay_alu instid0(SALU_CYCLE_1)
	v_mov_b64_e32 v[2:3], s[10:11]
	s_wait_xcnt 0x0
	global_store_b64 v0, v[2:3], s[6:7] scope:SCOPE_SYS
.LBB0_4288:                             ;   Parent Loop BB0_2003 Depth=1
                                        ; =>  This Inner Loop Header: Depth=2
	global_load_b64 v[2:3], v0, s[4:5] scope:SCOPE_SYS
	s_wait_loadcnt 0x0
	v_cmp_ne_u64_e32 vcc_lo, s[10:11], v[2:3]
	s_cbranch_vccnz .LBB0_4288
; %bb.4289:                             ;   in Loop: Header=BB0_2003 Depth=1
	s_add_co_i32 s10, s8, 0x477
	s_mov_b32 s11, s9
	s_delay_alu instid0(SALU_CYCLE_1)
	v_mov_b64_e32 v[2:3], s[10:11]
	s_wait_xcnt 0x0
	global_store_b64 v0, v[2:3], s[6:7] scope:SCOPE_SYS
.LBB0_4290:                             ;   Parent Loop BB0_2003 Depth=1
                                        ; =>  This Inner Loop Header: Depth=2
	global_load_b64 v[2:3], v0, s[4:5] scope:SCOPE_SYS
	s_wait_loadcnt 0x0
	v_cmp_ne_u64_e32 vcc_lo, s[10:11], v[2:3]
	s_cbranch_vccnz .LBB0_4290
; %bb.4291:                             ;   in Loop: Header=BB0_2003 Depth=1
	s_add_co_i32 s10, s8, 0x478
	s_mov_b32 s11, s9
	s_delay_alu instid0(SALU_CYCLE_1)
	v_mov_b64_e32 v[2:3], s[10:11]
	s_wait_xcnt 0x0
	global_store_b64 v0, v[2:3], s[6:7] scope:SCOPE_SYS
.LBB0_4292:                             ;   Parent Loop BB0_2003 Depth=1
                                        ; =>  This Inner Loop Header: Depth=2
	global_load_b64 v[2:3], v0, s[4:5] scope:SCOPE_SYS
	s_wait_loadcnt 0x0
	v_cmp_ne_u64_e32 vcc_lo, s[10:11], v[2:3]
	s_cbranch_vccnz .LBB0_4292
; %bb.4293:                             ;   in Loop: Header=BB0_2003 Depth=1
	s_add_co_i32 s10, s8, 0x479
	s_mov_b32 s11, s9
	s_delay_alu instid0(SALU_CYCLE_1)
	v_mov_b64_e32 v[2:3], s[10:11]
	s_wait_xcnt 0x0
	global_store_b64 v0, v[2:3], s[6:7] scope:SCOPE_SYS
.LBB0_4294:                             ;   Parent Loop BB0_2003 Depth=1
                                        ; =>  This Inner Loop Header: Depth=2
	global_load_b64 v[2:3], v0, s[4:5] scope:SCOPE_SYS
	s_wait_loadcnt 0x0
	v_cmp_ne_u64_e32 vcc_lo, s[10:11], v[2:3]
	s_cbranch_vccnz .LBB0_4294
; %bb.4295:                             ;   in Loop: Header=BB0_2003 Depth=1
	s_add_co_i32 s10, s8, 0x47a
	s_mov_b32 s11, s9
	s_delay_alu instid0(SALU_CYCLE_1)
	v_mov_b64_e32 v[2:3], s[10:11]
	s_wait_xcnt 0x0
	global_store_b64 v0, v[2:3], s[6:7] scope:SCOPE_SYS
.LBB0_4296:                             ;   Parent Loop BB0_2003 Depth=1
                                        ; =>  This Inner Loop Header: Depth=2
	global_load_b64 v[2:3], v0, s[4:5] scope:SCOPE_SYS
	s_wait_loadcnt 0x0
	v_cmp_ne_u64_e32 vcc_lo, s[10:11], v[2:3]
	s_cbranch_vccnz .LBB0_4296
; %bb.4297:                             ;   in Loop: Header=BB0_2003 Depth=1
	s_add_co_i32 s10, s8, 0x47b
	s_mov_b32 s11, s9
	s_delay_alu instid0(SALU_CYCLE_1)
	v_mov_b64_e32 v[2:3], s[10:11]
	s_wait_xcnt 0x0
	global_store_b64 v0, v[2:3], s[6:7] scope:SCOPE_SYS
.LBB0_4298:                             ;   Parent Loop BB0_2003 Depth=1
                                        ; =>  This Inner Loop Header: Depth=2
	global_load_b64 v[2:3], v0, s[4:5] scope:SCOPE_SYS
	s_wait_loadcnt 0x0
	v_cmp_ne_u64_e32 vcc_lo, s[10:11], v[2:3]
	s_cbranch_vccnz .LBB0_4298
; %bb.4299:                             ;   in Loop: Header=BB0_2003 Depth=1
	s_add_co_i32 s10, s8, 0x47c
	s_mov_b32 s11, s9
	s_delay_alu instid0(SALU_CYCLE_1)
	v_mov_b64_e32 v[2:3], s[10:11]
	s_wait_xcnt 0x0
	global_store_b64 v0, v[2:3], s[6:7] scope:SCOPE_SYS
.LBB0_4300:                             ;   Parent Loop BB0_2003 Depth=1
                                        ; =>  This Inner Loop Header: Depth=2
	global_load_b64 v[2:3], v0, s[4:5] scope:SCOPE_SYS
	s_wait_loadcnt 0x0
	v_cmp_ne_u64_e32 vcc_lo, s[10:11], v[2:3]
	s_cbranch_vccnz .LBB0_4300
; %bb.4301:                             ;   in Loop: Header=BB0_2003 Depth=1
	s_add_co_i32 s10, s8, 0x47d
	s_mov_b32 s11, s9
	s_delay_alu instid0(SALU_CYCLE_1)
	v_mov_b64_e32 v[2:3], s[10:11]
	s_wait_xcnt 0x0
	global_store_b64 v0, v[2:3], s[6:7] scope:SCOPE_SYS
.LBB0_4302:                             ;   Parent Loop BB0_2003 Depth=1
                                        ; =>  This Inner Loop Header: Depth=2
	global_load_b64 v[2:3], v0, s[4:5] scope:SCOPE_SYS
	s_wait_loadcnt 0x0
	v_cmp_ne_u64_e32 vcc_lo, s[10:11], v[2:3]
	s_cbranch_vccnz .LBB0_4302
; %bb.4303:                             ;   in Loop: Header=BB0_2003 Depth=1
	s_add_co_i32 s10, s8, 0x47e
	s_mov_b32 s11, s9
	s_delay_alu instid0(SALU_CYCLE_1)
	v_mov_b64_e32 v[2:3], s[10:11]
	s_wait_xcnt 0x0
	global_store_b64 v0, v[2:3], s[6:7] scope:SCOPE_SYS
.LBB0_4304:                             ;   Parent Loop BB0_2003 Depth=1
                                        ; =>  This Inner Loop Header: Depth=2
	global_load_b64 v[2:3], v0, s[4:5] scope:SCOPE_SYS
	s_wait_loadcnt 0x0
	v_cmp_ne_u64_e32 vcc_lo, s[10:11], v[2:3]
	s_cbranch_vccnz .LBB0_4304
; %bb.4305:                             ;   in Loop: Header=BB0_2003 Depth=1
	s_add_co_i32 s10, s8, 0x47f
	s_mov_b32 s11, s9
	s_delay_alu instid0(SALU_CYCLE_1)
	v_mov_b64_e32 v[2:3], s[10:11]
	s_wait_xcnt 0x0
	global_store_b64 v0, v[2:3], s[6:7] scope:SCOPE_SYS
.LBB0_4306:                             ;   Parent Loop BB0_2003 Depth=1
                                        ; =>  This Inner Loop Header: Depth=2
	global_load_b64 v[2:3], v0, s[4:5] scope:SCOPE_SYS
	s_wait_loadcnt 0x0
	v_cmp_ne_u64_e32 vcc_lo, s[10:11], v[2:3]
	s_cbranch_vccnz .LBB0_4306
; %bb.4307:                             ;   in Loop: Header=BB0_2003 Depth=1
	s_add_co_i32 s10, s8, 0x480
	s_mov_b32 s11, s9
	s_delay_alu instid0(SALU_CYCLE_1)
	v_mov_b64_e32 v[2:3], s[10:11]
	s_wait_xcnt 0x0
	global_store_b64 v0, v[2:3], s[6:7] scope:SCOPE_SYS
.LBB0_4308:                             ;   Parent Loop BB0_2003 Depth=1
                                        ; =>  This Inner Loop Header: Depth=2
	global_load_b64 v[2:3], v0, s[4:5] scope:SCOPE_SYS
	s_wait_loadcnt 0x0
	v_cmp_ne_u64_e32 vcc_lo, s[10:11], v[2:3]
	s_cbranch_vccnz .LBB0_4308
; %bb.4309:                             ;   in Loop: Header=BB0_2003 Depth=1
	s_add_co_i32 s10, s8, 0x481
	s_mov_b32 s11, s9
	s_delay_alu instid0(SALU_CYCLE_1)
	v_mov_b64_e32 v[2:3], s[10:11]
	s_wait_xcnt 0x0
	global_store_b64 v0, v[2:3], s[6:7] scope:SCOPE_SYS
.LBB0_4310:                             ;   Parent Loop BB0_2003 Depth=1
                                        ; =>  This Inner Loop Header: Depth=2
	global_load_b64 v[2:3], v0, s[4:5] scope:SCOPE_SYS
	s_wait_loadcnt 0x0
	v_cmp_ne_u64_e32 vcc_lo, s[10:11], v[2:3]
	s_cbranch_vccnz .LBB0_4310
; %bb.4311:                             ;   in Loop: Header=BB0_2003 Depth=1
	s_add_co_i32 s10, s8, 0x482
	s_mov_b32 s11, s9
	s_delay_alu instid0(SALU_CYCLE_1)
	v_mov_b64_e32 v[2:3], s[10:11]
	s_wait_xcnt 0x0
	global_store_b64 v0, v[2:3], s[6:7] scope:SCOPE_SYS
.LBB0_4312:                             ;   Parent Loop BB0_2003 Depth=1
                                        ; =>  This Inner Loop Header: Depth=2
	global_load_b64 v[2:3], v0, s[4:5] scope:SCOPE_SYS
	s_wait_loadcnt 0x0
	v_cmp_ne_u64_e32 vcc_lo, s[10:11], v[2:3]
	s_cbranch_vccnz .LBB0_4312
; %bb.4313:                             ;   in Loop: Header=BB0_2003 Depth=1
	s_add_co_i32 s10, s8, 0x483
	s_mov_b32 s11, s9
	s_delay_alu instid0(SALU_CYCLE_1)
	v_mov_b64_e32 v[2:3], s[10:11]
	s_wait_xcnt 0x0
	global_store_b64 v0, v[2:3], s[6:7] scope:SCOPE_SYS
.LBB0_4314:                             ;   Parent Loop BB0_2003 Depth=1
                                        ; =>  This Inner Loop Header: Depth=2
	global_load_b64 v[2:3], v0, s[4:5] scope:SCOPE_SYS
	s_wait_loadcnt 0x0
	v_cmp_ne_u64_e32 vcc_lo, s[10:11], v[2:3]
	s_cbranch_vccnz .LBB0_4314
; %bb.4315:                             ;   in Loop: Header=BB0_2003 Depth=1
	s_add_co_i32 s10, s8, 0x484
	s_mov_b32 s11, s9
	s_delay_alu instid0(SALU_CYCLE_1)
	v_mov_b64_e32 v[2:3], s[10:11]
	s_wait_xcnt 0x0
	global_store_b64 v0, v[2:3], s[6:7] scope:SCOPE_SYS
.LBB0_4316:                             ;   Parent Loop BB0_2003 Depth=1
                                        ; =>  This Inner Loop Header: Depth=2
	global_load_b64 v[2:3], v0, s[4:5] scope:SCOPE_SYS
	s_wait_loadcnt 0x0
	v_cmp_ne_u64_e32 vcc_lo, s[10:11], v[2:3]
	s_cbranch_vccnz .LBB0_4316
; %bb.4317:                             ;   in Loop: Header=BB0_2003 Depth=1
	s_add_co_i32 s10, s8, 0x485
	s_mov_b32 s11, s9
	s_delay_alu instid0(SALU_CYCLE_1)
	v_mov_b64_e32 v[2:3], s[10:11]
	s_wait_xcnt 0x0
	global_store_b64 v0, v[2:3], s[6:7] scope:SCOPE_SYS
.LBB0_4318:                             ;   Parent Loop BB0_2003 Depth=1
                                        ; =>  This Inner Loop Header: Depth=2
	global_load_b64 v[2:3], v0, s[4:5] scope:SCOPE_SYS
	s_wait_loadcnt 0x0
	v_cmp_ne_u64_e32 vcc_lo, s[10:11], v[2:3]
	s_cbranch_vccnz .LBB0_4318
; %bb.4319:                             ;   in Loop: Header=BB0_2003 Depth=1
	s_add_co_i32 s10, s8, 0x486
	s_mov_b32 s11, s9
	s_delay_alu instid0(SALU_CYCLE_1)
	v_mov_b64_e32 v[2:3], s[10:11]
	s_wait_xcnt 0x0
	global_store_b64 v0, v[2:3], s[6:7] scope:SCOPE_SYS
.LBB0_4320:                             ;   Parent Loop BB0_2003 Depth=1
                                        ; =>  This Inner Loop Header: Depth=2
	global_load_b64 v[2:3], v0, s[4:5] scope:SCOPE_SYS
	s_wait_loadcnt 0x0
	v_cmp_ne_u64_e32 vcc_lo, s[10:11], v[2:3]
	s_cbranch_vccnz .LBB0_4320
; %bb.4321:                             ;   in Loop: Header=BB0_2003 Depth=1
	s_add_co_i32 s10, s8, 0x487
	s_mov_b32 s11, s9
	s_delay_alu instid0(SALU_CYCLE_1)
	v_mov_b64_e32 v[2:3], s[10:11]
	s_wait_xcnt 0x0
	global_store_b64 v0, v[2:3], s[6:7] scope:SCOPE_SYS
.LBB0_4322:                             ;   Parent Loop BB0_2003 Depth=1
                                        ; =>  This Inner Loop Header: Depth=2
	global_load_b64 v[2:3], v0, s[4:5] scope:SCOPE_SYS
	s_wait_loadcnt 0x0
	v_cmp_ne_u64_e32 vcc_lo, s[10:11], v[2:3]
	s_cbranch_vccnz .LBB0_4322
; %bb.4323:                             ;   in Loop: Header=BB0_2003 Depth=1
	s_add_co_i32 s10, s8, 0x488
	s_mov_b32 s11, s9
	s_delay_alu instid0(SALU_CYCLE_1)
	v_mov_b64_e32 v[2:3], s[10:11]
	s_wait_xcnt 0x0
	global_store_b64 v0, v[2:3], s[6:7] scope:SCOPE_SYS
.LBB0_4324:                             ;   Parent Loop BB0_2003 Depth=1
                                        ; =>  This Inner Loop Header: Depth=2
	global_load_b64 v[2:3], v0, s[4:5] scope:SCOPE_SYS
	s_wait_loadcnt 0x0
	v_cmp_ne_u64_e32 vcc_lo, s[10:11], v[2:3]
	s_cbranch_vccnz .LBB0_4324
; %bb.4325:                             ;   in Loop: Header=BB0_2003 Depth=1
	s_add_co_i32 s10, s8, 0x489
	s_mov_b32 s11, s9
	s_delay_alu instid0(SALU_CYCLE_1)
	v_mov_b64_e32 v[2:3], s[10:11]
	s_wait_xcnt 0x0
	global_store_b64 v0, v[2:3], s[6:7] scope:SCOPE_SYS
.LBB0_4326:                             ;   Parent Loop BB0_2003 Depth=1
                                        ; =>  This Inner Loop Header: Depth=2
	global_load_b64 v[2:3], v0, s[4:5] scope:SCOPE_SYS
	s_wait_loadcnt 0x0
	v_cmp_ne_u64_e32 vcc_lo, s[10:11], v[2:3]
	s_cbranch_vccnz .LBB0_4326
; %bb.4327:                             ;   in Loop: Header=BB0_2003 Depth=1
	s_add_co_i32 s10, s8, 0x48a
	s_mov_b32 s11, s9
	s_delay_alu instid0(SALU_CYCLE_1)
	v_mov_b64_e32 v[2:3], s[10:11]
	s_wait_xcnt 0x0
	global_store_b64 v0, v[2:3], s[6:7] scope:SCOPE_SYS
.LBB0_4328:                             ;   Parent Loop BB0_2003 Depth=1
                                        ; =>  This Inner Loop Header: Depth=2
	global_load_b64 v[2:3], v0, s[4:5] scope:SCOPE_SYS
	s_wait_loadcnt 0x0
	v_cmp_ne_u64_e32 vcc_lo, s[10:11], v[2:3]
	s_cbranch_vccnz .LBB0_4328
; %bb.4329:                             ;   in Loop: Header=BB0_2003 Depth=1
	s_add_co_i32 s10, s8, 0x48b
	s_mov_b32 s11, s9
	s_delay_alu instid0(SALU_CYCLE_1)
	v_mov_b64_e32 v[2:3], s[10:11]
	s_wait_xcnt 0x0
	global_store_b64 v0, v[2:3], s[6:7] scope:SCOPE_SYS
.LBB0_4330:                             ;   Parent Loop BB0_2003 Depth=1
                                        ; =>  This Inner Loop Header: Depth=2
	global_load_b64 v[2:3], v0, s[4:5] scope:SCOPE_SYS
	s_wait_loadcnt 0x0
	v_cmp_ne_u64_e32 vcc_lo, s[10:11], v[2:3]
	s_cbranch_vccnz .LBB0_4330
; %bb.4331:                             ;   in Loop: Header=BB0_2003 Depth=1
	s_add_co_i32 s10, s8, 0x48c
	s_mov_b32 s11, s9
	s_delay_alu instid0(SALU_CYCLE_1)
	v_mov_b64_e32 v[2:3], s[10:11]
	s_wait_xcnt 0x0
	global_store_b64 v0, v[2:3], s[6:7] scope:SCOPE_SYS
.LBB0_4332:                             ;   Parent Loop BB0_2003 Depth=1
                                        ; =>  This Inner Loop Header: Depth=2
	global_load_b64 v[2:3], v0, s[4:5] scope:SCOPE_SYS
	s_wait_loadcnt 0x0
	v_cmp_ne_u64_e32 vcc_lo, s[10:11], v[2:3]
	s_cbranch_vccnz .LBB0_4332
; %bb.4333:                             ;   in Loop: Header=BB0_2003 Depth=1
	s_add_co_i32 s10, s8, 0x48d
	s_mov_b32 s11, s9
	s_delay_alu instid0(SALU_CYCLE_1)
	v_mov_b64_e32 v[2:3], s[10:11]
	s_wait_xcnt 0x0
	global_store_b64 v0, v[2:3], s[6:7] scope:SCOPE_SYS
.LBB0_4334:                             ;   Parent Loop BB0_2003 Depth=1
                                        ; =>  This Inner Loop Header: Depth=2
	global_load_b64 v[2:3], v0, s[4:5] scope:SCOPE_SYS
	s_wait_loadcnt 0x0
	v_cmp_ne_u64_e32 vcc_lo, s[10:11], v[2:3]
	s_cbranch_vccnz .LBB0_4334
; %bb.4335:                             ;   in Loop: Header=BB0_2003 Depth=1
	s_add_co_i32 s10, s8, 0x48e
	s_mov_b32 s11, s9
	s_delay_alu instid0(SALU_CYCLE_1)
	v_mov_b64_e32 v[2:3], s[10:11]
	s_wait_xcnt 0x0
	global_store_b64 v0, v[2:3], s[6:7] scope:SCOPE_SYS
.LBB0_4336:                             ;   Parent Loop BB0_2003 Depth=1
                                        ; =>  This Inner Loop Header: Depth=2
	global_load_b64 v[2:3], v0, s[4:5] scope:SCOPE_SYS
	s_wait_loadcnt 0x0
	v_cmp_ne_u64_e32 vcc_lo, s[10:11], v[2:3]
	s_cbranch_vccnz .LBB0_4336
; %bb.4337:                             ;   in Loop: Header=BB0_2003 Depth=1
	s_add_co_i32 s10, s8, 0x48f
	s_mov_b32 s11, s9
	s_delay_alu instid0(SALU_CYCLE_1)
	v_mov_b64_e32 v[2:3], s[10:11]
	s_wait_xcnt 0x0
	global_store_b64 v0, v[2:3], s[6:7] scope:SCOPE_SYS
.LBB0_4338:                             ;   Parent Loop BB0_2003 Depth=1
                                        ; =>  This Inner Loop Header: Depth=2
	global_load_b64 v[2:3], v0, s[4:5] scope:SCOPE_SYS
	s_wait_loadcnt 0x0
	v_cmp_ne_u64_e32 vcc_lo, s[10:11], v[2:3]
	s_cbranch_vccnz .LBB0_4338
; %bb.4339:                             ;   in Loop: Header=BB0_2003 Depth=1
	s_add_co_i32 s10, s8, 0x490
	s_mov_b32 s11, s9
	s_delay_alu instid0(SALU_CYCLE_1)
	v_mov_b64_e32 v[2:3], s[10:11]
	s_wait_xcnt 0x0
	global_store_b64 v0, v[2:3], s[6:7] scope:SCOPE_SYS
.LBB0_4340:                             ;   Parent Loop BB0_2003 Depth=1
                                        ; =>  This Inner Loop Header: Depth=2
	global_load_b64 v[2:3], v0, s[4:5] scope:SCOPE_SYS
	s_wait_loadcnt 0x0
	v_cmp_ne_u64_e32 vcc_lo, s[10:11], v[2:3]
	s_cbranch_vccnz .LBB0_4340
; %bb.4341:                             ;   in Loop: Header=BB0_2003 Depth=1
	s_add_co_i32 s10, s8, 0x491
	s_mov_b32 s11, s9
	s_delay_alu instid0(SALU_CYCLE_1)
	v_mov_b64_e32 v[2:3], s[10:11]
	s_wait_xcnt 0x0
	global_store_b64 v0, v[2:3], s[6:7] scope:SCOPE_SYS
.LBB0_4342:                             ;   Parent Loop BB0_2003 Depth=1
                                        ; =>  This Inner Loop Header: Depth=2
	global_load_b64 v[2:3], v0, s[4:5] scope:SCOPE_SYS
	s_wait_loadcnt 0x0
	v_cmp_ne_u64_e32 vcc_lo, s[10:11], v[2:3]
	s_cbranch_vccnz .LBB0_4342
; %bb.4343:                             ;   in Loop: Header=BB0_2003 Depth=1
	s_add_co_i32 s10, s8, 0x492
	s_mov_b32 s11, s9
	s_delay_alu instid0(SALU_CYCLE_1)
	v_mov_b64_e32 v[2:3], s[10:11]
	s_wait_xcnt 0x0
	global_store_b64 v0, v[2:3], s[6:7] scope:SCOPE_SYS
.LBB0_4344:                             ;   Parent Loop BB0_2003 Depth=1
                                        ; =>  This Inner Loop Header: Depth=2
	global_load_b64 v[2:3], v0, s[4:5] scope:SCOPE_SYS
	s_wait_loadcnt 0x0
	v_cmp_ne_u64_e32 vcc_lo, s[10:11], v[2:3]
	s_cbranch_vccnz .LBB0_4344
; %bb.4345:                             ;   in Loop: Header=BB0_2003 Depth=1
	s_add_co_i32 s10, s8, 0x493
	s_mov_b32 s11, s9
	s_delay_alu instid0(SALU_CYCLE_1)
	v_mov_b64_e32 v[2:3], s[10:11]
	s_wait_xcnt 0x0
	global_store_b64 v0, v[2:3], s[6:7] scope:SCOPE_SYS
.LBB0_4346:                             ;   Parent Loop BB0_2003 Depth=1
                                        ; =>  This Inner Loop Header: Depth=2
	global_load_b64 v[2:3], v0, s[4:5] scope:SCOPE_SYS
	s_wait_loadcnt 0x0
	v_cmp_ne_u64_e32 vcc_lo, s[10:11], v[2:3]
	s_cbranch_vccnz .LBB0_4346
; %bb.4347:                             ;   in Loop: Header=BB0_2003 Depth=1
	s_add_co_i32 s10, s8, 0x494
	s_mov_b32 s11, s9
	s_delay_alu instid0(SALU_CYCLE_1)
	v_mov_b64_e32 v[2:3], s[10:11]
	s_wait_xcnt 0x0
	global_store_b64 v0, v[2:3], s[6:7] scope:SCOPE_SYS
.LBB0_4348:                             ;   Parent Loop BB0_2003 Depth=1
                                        ; =>  This Inner Loop Header: Depth=2
	global_load_b64 v[2:3], v0, s[4:5] scope:SCOPE_SYS
	s_wait_loadcnt 0x0
	v_cmp_ne_u64_e32 vcc_lo, s[10:11], v[2:3]
	s_cbranch_vccnz .LBB0_4348
; %bb.4349:                             ;   in Loop: Header=BB0_2003 Depth=1
	s_add_co_i32 s10, s8, 0x495
	s_mov_b32 s11, s9
	s_delay_alu instid0(SALU_CYCLE_1)
	v_mov_b64_e32 v[2:3], s[10:11]
	s_wait_xcnt 0x0
	global_store_b64 v0, v[2:3], s[6:7] scope:SCOPE_SYS
.LBB0_4350:                             ;   Parent Loop BB0_2003 Depth=1
                                        ; =>  This Inner Loop Header: Depth=2
	global_load_b64 v[2:3], v0, s[4:5] scope:SCOPE_SYS
	s_wait_loadcnt 0x0
	v_cmp_ne_u64_e32 vcc_lo, s[10:11], v[2:3]
	s_cbranch_vccnz .LBB0_4350
; %bb.4351:                             ;   in Loop: Header=BB0_2003 Depth=1
	s_add_co_i32 s10, s8, 0x496
	s_mov_b32 s11, s9
	s_delay_alu instid0(SALU_CYCLE_1)
	v_mov_b64_e32 v[2:3], s[10:11]
	s_wait_xcnt 0x0
	global_store_b64 v0, v[2:3], s[6:7] scope:SCOPE_SYS
.LBB0_4352:                             ;   Parent Loop BB0_2003 Depth=1
                                        ; =>  This Inner Loop Header: Depth=2
	global_load_b64 v[2:3], v0, s[4:5] scope:SCOPE_SYS
	s_wait_loadcnt 0x0
	v_cmp_ne_u64_e32 vcc_lo, s[10:11], v[2:3]
	s_cbranch_vccnz .LBB0_4352
; %bb.4353:                             ;   in Loop: Header=BB0_2003 Depth=1
	s_add_co_i32 s10, s8, 0x497
	s_mov_b32 s11, s9
	s_delay_alu instid0(SALU_CYCLE_1)
	v_mov_b64_e32 v[2:3], s[10:11]
	s_wait_xcnt 0x0
	global_store_b64 v0, v[2:3], s[6:7] scope:SCOPE_SYS
.LBB0_4354:                             ;   Parent Loop BB0_2003 Depth=1
                                        ; =>  This Inner Loop Header: Depth=2
	global_load_b64 v[2:3], v0, s[4:5] scope:SCOPE_SYS
	s_wait_loadcnt 0x0
	v_cmp_ne_u64_e32 vcc_lo, s[10:11], v[2:3]
	s_cbranch_vccnz .LBB0_4354
; %bb.4355:                             ;   in Loop: Header=BB0_2003 Depth=1
	s_add_co_i32 s10, s8, 0x498
	s_mov_b32 s11, s9
	s_delay_alu instid0(SALU_CYCLE_1)
	v_mov_b64_e32 v[2:3], s[10:11]
	s_wait_xcnt 0x0
	global_store_b64 v0, v[2:3], s[6:7] scope:SCOPE_SYS
.LBB0_4356:                             ;   Parent Loop BB0_2003 Depth=1
                                        ; =>  This Inner Loop Header: Depth=2
	global_load_b64 v[2:3], v0, s[4:5] scope:SCOPE_SYS
	s_wait_loadcnt 0x0
	v_cmp_ne_u64_e32 vcc_lo, s[10:11], v[2:3]
	s_cbranch_vccnz .LBB0_4356
; %bb.4357:                             ;   in Loop: Header=BB0_2003 Depth=1
	s_add_co_i32 s10, s8, 0x499
	s_mov_b32 s11, s9
	s_delay_alu instid0(SALU_CYCLE_1)
	v_mov_b64_e32 v[2:3], s[10:11]
	s_wait_xcnt 0x0
	global_store_b64 v0, v[2:3], s[6:7] scope:SCOPE_SYS
.LBB0_4358:                             ;   Parent Loop BB0_2003 Depth=1
                                        ; =>  This Inner Loop Header: Depth=2
	global_load_b64 v[2:3], v0, s[4:5] scope:SCOPE_SYS
	s_wait_loadcnt 0x0
	v_cmp_ne_u64_e32 vcc_lo, s[10:11], v[2:3]
	s_cbranch_vccnz .LBB0_4358
; %bb.4359:                             ;   in Loop: Header=BB0_2003 Depth=1
	s_add_co_i32 s10, s8, 0x49a
	s_mov_b32 s11, s9
	s_delay_alu instid0(SALU_CYCLE_1)
	v_mov_b64_e32 v[2:3], s[10:11]
	s_wait_xcnt 0x0
	global_store_b64 v0, v[2:3], s[6:7] scope:SCOPE_SYS
.LBB0_4360:                             ;   Parent Loop BB0_2003 Depth=1
                                        ; =>  This Inner Loop Header: Depth=2
	global_load_b64 v[2:3], v0, s[4:5] scope:SCOPE_SYS
	s_wait_loadcnt 0x0
	v_cmp_ne_u64_e32 vcc_lo, s[10:11], v[2:3]
	s_cbranch_vccnz .LBB0_4360
; %bb.4361:                             ;   in Loop: Header=BB0_2003 Depth=1
	s_add_co_i32 s10, s8, 0x49b
	s_mov_b32 s11, s9
	s_delay_alu instid0(SALU_CYCLE_1)
	v_mov_b64_e32 v[2:3], s[10:11]
	s_wait_xcnt 0x0
	global_store_b64 v0, v[2:3], s[6:7] scope:SCOPE_SYS
.LBB0_4362:                             ;   Parent Loop BB0_2003 Depth=1
                                        ; =>  This Inner Loop Header: Depth=2
	global_load_b64 v[2:3], v0, s[4:5] scope:SCOPE_SYS
	s_wait_loadcnt 0x0
	v_cmp_ne_u64_e32 vcc_lo, s[10:11], v[2:3]
	s_cbranch_vccnz .LBB0_4362
; %bb.4363:                             ;   in Loop: Header=BB0_2003 Depth=1
	s_add_co_i32 s10, s8, 0x49c
	s_mov_b32 s11, s9
	s_delay_alu instid0(SALU_CYCLE_1)
	v_mov_b64_e32 v[2:3], s[10:11]
	s_wait_xcnt 0x0
	global_store_b64 v0, v[2:3], s[6:7] scope:SCOPE_SYS
.LBB0_4364:                             ;   Parent Loop BB0_2003 Depth=1
                                        ; =>  This Inner Loop Header: Depth=2
	global_load_b64 v[2:3], v0, s[4:5] scope:SCOPE_SYS
	s_wait_loadcnt 0x0
	v_cmp_ne_u64_e32 vcc_lo, s[10:11], v[2:3]
	s_cbranch_vccnz .LBB0_4364
; %bb.4365:                             ;   in Loop: Header=BB0_2003 Depth=1
	s_add_co_i32 s10, s8, 0x49d
	s_mov_b32 s11, s9
	s_delay_alu instid0(SALU_CYCLE_1)
	v_mov_b64_e32 v[2:3], s[10:11]
	s_wait_xcnt 0x0
	global_store_b64 v0, v[2:3], s[6:7] scope:SCOPE_SYS
.LBB0_4366:                             ;   Parent Loop BB0_2003 Depth=1
                                        ; =>  This Inner Loop Header: Depth=2
	global_load_b64 v[2:3], v0, s[4:5] scope:SCOPE_SYS
	s_wait_loadcnt 0x0
	v_cmp_ne_u64_e32 vcc_lo, s[10:11], v[2:3]
	s_cbranch_vccnz .LBB0_4366
; %bb.4367:                             ;   in Loop: Header=BB0_2003 Depth=1
	s_add_co_i32 s10, s8, 0x49e
	s_mov_b32 s11, s9
	s_delay_alu instid0(SALU_CYCLE_1)
	v_mov_b64_e32 v[2:3], s[10:11]
	s_wait_xcnt 0x0
	global_store_b64 v0, v[2:3], s[6:7] scope:SCOPE_SYS
.LBB0_4368:                             ;   Parent Loop BB0_2003 Depth=1
                                        ; =>  This Inner Loop Header: Depth=2
	global_load_b64 v[2:3], v0, s[4:5] scope:SCOPE_SYS
	s_wait_loadcnt 0x0
	v_cmp_ne_u64_e32 vcc_lo, s[10:11], v[2:3]
	s_cbranch_vccnz .LBB0_4368
; %bb.4369:                             ;   in Loop: Header=BB0_2003 Depth=1
	s_add_co_i32 s10, s8, 0x49f
	s_mov_b32 s11, s9
	s_delay_alu instid0(SALU_CYCLE_1)
	v_mov_b64_e32 v[2:3], s[10:11]
	s_wait_xcnt 0x0
	global_store_b64 v0, v[2:3], s[6:7] scope:SCOPE_SYS
.LBB0_4370:                             ;   Parent Loop BB0_2003 Depth=1
                                        ; =>  This Inner Loop Header: Depth=2
	global_load_b64 v[2:3], v0, s[4:5] scope:SCOPE_SYS
	s_wait_loadcnt 0x0
	v_cmp_ne_u64_e32 vcc_lo, s[10:11], v[2:3]
	s_cbranch_vccnz .LBB0_4370
; %bb.4371:                             ;   in Loop: Header=BB0_2003 Depth=1
	s_add_co_i32 s10, s8, 0x4a0
	s_mov_b32 s11, s9
	s_delay_alu instid0(SALU_CYCLE_1)
	v_mov_b64_e32 v[2:3], s[10:11]
	s_wait_xcnt 0x0
	global_store_b64 v0, v[2:3], s[6:7] scope:SCOPE_SYS
.LBB0_4372:                             ;   Parent Loop BB0_2003 Depth=1
                                        ; =>  This Inner Loop Header: Depth=2
	global_load_b64 v[2:3], v0, s[4:5] scope:SCOPE_SYS
	s_wait_loadcnt 0x0
	v_cmp_ne_u64_e32 vcc_lo, s[10:11], v[2:3]
	s_cbranch_vccnz .LBB0_4372
; %bb.4373:                             ;   in Loop: Header=BB0_2003 Depth=1
	s_add_co_i32 s10, s8, 0x4a1
	s_mov_b32 s11, s9
	s_delay_alu instid0(SALU_CYCLE_1)
	v_mov_b64_e32 v[2:3], s[10:11]
	s_wait_xcnt 0x0
	global_store_b64 v0, v[2:3], s[6:7] scope:SCOPE_SYS
.LBB0_4374:                             ;   Parent Loop BB0_2003 Depth=1
                                        ; =>  This Inner Loop Header: Depth=2
	global_load_b64 v[2:3], v0, s[4:5] scope:SCOPE_SYS
	s_wait_loadcnt 0x0
	v_cmp_ne_u64_e32 vcc_lo, s[10:11], v[2:3]
	s_cbranch_vccnz .LBB0_4374
; %bb.4375:                             ;   in Loop: Header=BB0_2003 Depth=1
	s_add_co_i32 s10, s8, 0x4a2
	s_mov_b32 s11, s9
	s_delay_alu instid0(SALU_CYCLE_1)
	v_mov_b64_e32 v[2:3], s[10:11]
	s_wait_xcnt 0x0
	global_store_b64 v0, v[2:3], s[6:7] scope:SCOPE_SYS
.LBB0_4376:                             ;   Parent Loop BB0_2003 Depth=1
                                        ; =>  This Inner Loop Header: Depth=2
	global_load_b64 v[2:3], v0, s[4:5] scope:SCOPE_SYS
	s_wait_loadcnt 0x0
	v_cmp_ne_u64_e32 vcc_lo, s[10:11], v[2:3]
	s_cbranch_vccnz .LBB0_4376
; %bb.4377:                             ;   in Loop: Header=BB0_2003 Depth=1
	s_add_co_i32 s10, s8, 0x4a3
	s_mov_b32 s11, s9
	s_delay_alu instid0(SALU_CYCLE_1)
	v_mov_b64_e32 v[2:3], s[10:11]
	s_wait_xcnt 0x0
	global_store_b64 v0, v[2:3], s[6:7] scope:SCOPE_SYS
.LBB0_4378:                             ;   Parent Loop BB0_2003 Depth=1
                                        ; =>  This Inner Loop Header: Depth=2
	global_load_b64 v[2:3], v0, s[4:5] scope:SCOPE_SYS
	s_wait_loadcnt 0x0
	v_cmp_ne_u64_e32 vcc_lo, s[10:11], v[2:3]
	s_cbranch_vccnz .LBB0_4378
; %bb.4379:                             ;   in Loop: Header=BB0_2003 Depth=1
	s_add_co_i32 s10, s8, 0x4a4
	s_mov_b32 s11, s9
	s_delay_alu instid0(SALU_CYCLE_1)
	v_mov_b64_e32 v[2:3], s[10:11]
	s_wait_xcnt 0x0
	global_store_b64 v0, v[2:3], s[6:7] scope:SCOPE_SYS
.LBB0_4380:                             ;   Parent Loop BB0_2003 Depth=1
                                        ; =>  This Inner Loop Header: Depth=2
	global_load_b64 v[2:3], v0, s[4:5] scope:SCOPE_SYS
	s_wait_loadcnt 0x0
	v_cmp_ne_u64_e32 vcc_lo, s[10:11], v[2:3]
	s_cbranch_vccnz .LBB0_4380
; %bb.4381:                             ;   in Loop: Header=BB0_2003 Depth=1
	s_add_co_i32 s10, s8, 0x4a5
	s_mov_b32 s11, s9
	s_delay_alu instid0(SALU_CYCLE_1)
	v_mov_b64_e32 v[2:3], s[10:11]
	s_wait_xcnt 0x0
	global_store_b64 v0, v[2:3], s[6:7] scope:SCOPE_SYS
.LBB0_4382:                             ;   Parent Loop BB0_2003 Depth=1
                                        ; =>  This Inner Loop Header: Depth=2
	global_load_b64 v[2:3], v0, s[4:5] scope:SCOPE_SYS
	s_wait_loadcnt 0x0
	v_cmp_ne_u64_e32 vcc_lo, s[10:11], v[2:3]
	s_cbranch_vccnz .LBB0_4382
; %bb.4383:                             ;   in Loop: Header=BB0_2003 Depth=1
	s_add_co_i32 s10, s8, 0x4a6
	s_mov_b32 s11, s9
	s_delay_alu instid0(SALU_CYCLE_1)
	v_mov_b64_e32 v[2:3], s[10:11]
	s_wait_xcnt 0x0
	global_store_b64 v0, v[2:3], s[6:7] scope:SCOPE_SYS
.LBB0_4384:                             ;   Parent Loop BB0_2003 Depth=1
                                        ; =>  This Inner Loop Header: Depth=2
	global_load_b64 v[2:3], v0, s[4:5] scope:SCOPE_SYS
	s_wait_loadcnt 0x0
	v_cmp_ne_u64_e32 vcc_lo, s[10:11], v[2:3]
	s_cbranch_vccnz .LBB0_4384
; %bb.4385:                             ;   in Loop: Header=BB0_2003 Depth=1
	s_add_co_i32 s10, s8, 0x4a7
	s_mov_b32 s11, s9
	s_delay_alu instid0(SALU_CYCLE_1)
	v_mov_b64_e32 v[2:3], s[10:11]
	s_wait_xcnt 0x0
	global_store_b64 v0, v[2:3], s[6:7] scope:SCOPE_SYS
.LBB0_4386:                             ;   Parent Loop BB0_2003 Depth=1
                                        ; =>  This Inner Loop Header: Depth=2
	global_load_b64 v[2:3], v0, s[4:5] scope:SCOPE_SYS
	s_wait_loadcnt 0x0
	v_cmp_ne_u64_e32 vcc_lo, s[10:11], v[2:3]
	s_cbranch_vccnz .LBB0_4386
; %bb.4387:                             ;   in Loop: Header=BB0_2003 Depth=1
	s_add_co_i32 s10, s8, 0x4a8
	s_mov_b32 s11, s9
	s_delay_alu instid0(SALU_CYCLE_1)
	v_mov_b64_e32 v[2:3], s[10:11]
	s_wait_xcnt 0x0
	global_store_b64 v0, v[2:3], s[6:7] scope:SCOPE_SYS
.LBB0_4388:                             ;   Parent Loop BB0_2003 Depth=1
                                        ; =>  This Inner Loop Header: Depth=2
	global_load_b64 v[2:3], v0, s[4:5] scope:SCOPE_SYS
	s_wait_loadcnt 0x0
	v_cmp_ne_u64_e32 vcc_lo, s[10:11], v[2:3]
	s_cbranch_vccnz .LBB0_4388
; %bb.4389:                             ;   in Loop: Header=BB0_2003 Depth=1
	s_add_co_i32 s10, s8, 0x4a9
	s_mov_b32 s11, s9
	s_delay_alu instid0(SALU_CYCLE_1)
	v_mov_b64_e32 v[2:3], s[10:11]
	s_wait_xcnt 0x0
	global_store_b64 v0, v[2:3], s[6:7] scope:SCOPE_SYS
.LBB0_4390:                             ;   Parent Loop BB0_2003 Depth=1
                                        ; =>  This Inner Loop Header: Depth=2
	global_load_b64 v[2:3], v0, s[4:5] scope:SCOPE_SYS
	s_wait_loadcnt 0x0
	v_cmp_ne_u64_e32 vcc_lo, s[10:11], v[2:3]
	s_cbranch_vccnz .LBB0_4390
; %bb.4391:                             ;   in Loop: Header=BB0_2003 Depth=1
	s_add_co_i32 s10, s8, 0x4aa
	s_mov_b32 s11, s9
	s_delay_alu instid0(SALU_CYCLE_1)
	v_mov_b64_e32 v[2:3], s[10:11]
	s_wait_xcnt 0x0
	global_store_b64 v0, v[2:3], s[6:7] scope:SCOPE_SYS
.LBB0_4392:                             ;   Parent Loop BB0_2003 Depth=1
                                        ; =>  This Inner Loop Header: Depth=2
	global_load_b64 v[2:3], v0, s[4:5] scope:SCOPE_SYS
	s_wait_loadcnt 0x0
	v_cmp_ne_u64_e32 vcc_lo, s[10:11], v[2:3]
	s_cbranch_vccnz .LBB0_4392
; %bb.4393:                             ;   in Loop: Header=BB0_2003 Depth=1
	s_add_co_i32 s10, s8, 0x4ab
	s_mov_b32 s11, s9
	s_delay_alu instid0(SALU_CYCLE_1)
	v_mov_b64_e32 v[2:3], s[10:11]
	s_wait_xcnt 0x0
	global_store_b64 v0, v[2:3], s[6:7] scope:SCOPE_SYS
.LBB0_4394:                             ;   Parent Loop BB0_2003 Depth=1
                                        ; =>  This Inner Loop Header: Depth=2
	global_load_b64 v[2:3], v0, s[4:5] scope:SCOPE_SYS
	s_wait_loadcnt 0x0
	v_cmp_ne_u64_e32 vcc_lo, s[10:11], v[2:3]
	s_cbranch_vccnz .LBB0_4394
; %bb.4395:                             ;   in Loop: Header=BB0_2003 Depth=1
	s_add_co_i32 s10, s8, 0x4ac
	s_mov_b32 s11, s9
	s_delay_alu instid0(SALU_CYCLE_1)
	v_mov_b64_e32 v[2:3], s[10:11]
	s_wait_xcnt 0x0
	global_store_b64 v0, v[2:3], s[6:7] scope:SCOPE_SYS
.LBB0_4396:                             ;   Parent Loop BB0_2003 Depth=1
                                        ; =>  This Inner Loop Header: Depth=2
	global_load_b64 v[2:3], v0, s[4:5] scope:SCOPE_SYS
	s_wait_loadcnt 0x0
	v_cmp_ne_u64_e32 vcc_lo, s[10:11], v[2:3]
	s_cbranch_vccnz .LBB0_4396
; %bb.4397:                             ;   in Loop: Header=BB0_2003 Depth=1
	s_add_co_i32 s10, s8, 0x4ad
	s_mov_b32 s11, s9
	s_delay_alu instid0(SALU_CYCLE_1)
	v_mov_b64_e32 v[2:3], s[10:11]
	s_wait_xcnt 0x0
	global_store_b64 v0, v[2:3], s[6:7] scope:SCOPE_SYS
.LBB0_4398:                             ;   Parent Loop BB0_2003 Depth=1
                                        ; =>  This Inner Loop Header: Depth=2
	global_load_b64 v[2:3], v0, s[4:5] scope:SCOPE_SYS
	s_wait_loadcnt 0x0
	v_cmp_ne_u64_e32 vcc_lo, s[10:11], v[2:3]
	s_cbranch_vccnz .LBB0_4398
; %bb.4399:                             ;   in Loop: Header=BB0_2003 Depth=1
	s_add_co_i32 s10, s8, 0x4ae
	s_mov_b32 s11, s9
	s_delay_alu instid0(SALU_CYCLE_1)
	v_mov_b64_e32 v[2:3], s[10:11]
	s_wait_xcnt 0x0
	global_store_b64 v0, v[2:3], s[6:7] scope:SCOPE_SYS
.LBB0_4400:                             ;   Parent Loop BB0_2003 Depth=1
                                        ; =>  This Inner Loop Header: Depth=2
	global_load_b64 v[2:3], v0, s[4:5] scope:SCOPE_SYS
	s_wait_loadcnt 0x0
	v_cmp_ne_u64_e32 vcc_lo, s[10:11], v[2:3]
	s_cbranch_vccnz .LBB0_4400
; %bb.4401:                             ;   in Loop: Header=BB0_2003 Depth=1
	s_add_co_i32 s10, s8, 0x4af
	s_mov_b32 s11, s9
	s_delay_alu instid0(SALU_CYCLE_1)
	v_mov_b64_e32 v[2:3], s[10:11]
	s_wait_xcnt 0x0
	global_store_b64 v0, v[2:3], s[6:7] scope:SCOPE_SYS
.LBB0_4402:                             ;   Parent Loop BB0_2003 Depth=1
                                        ; =>  This Inner Loop Header: Depth=2
	global_load_b64 v[2:3], v0, s[4:5] scope:SCOPE_SYS
	s_wait_loadcnt 0x0
	v_cmp_ne_u64_e32 vcc_lo, s[10:11], v[2:3]
	s_cbranch_vccnz .LBB0_4402
; %bb.4403:                             ;   in Loop: Header=BB0_2003 Depth=1
	s_add_co_i32 s10, s8, 0x4b0
	s_mov_b32 s11, s9
	s_delay_alu instid0(SALU_CYCLE_1)
	v_mov_b64_e32 v[2:3], s[10:11]
	s_wait_xcnt 0x0
	global_store_b64 v0, v[2:3], s[6:7] scope:SCOPE_SYS
.LBB0_4404:                             ;   Parent Loop BB0_2003 Depth=1
                                        ; =>  This Inner Loop Header: Depth=2
	global_load_b64 v[2:3], v0, s[4:5] scope:SCOPE_SYS
	s_wait_loadcnt 0x0
	v_cmp_ne_u64_e32 vcc_lo, s[10:11], v[2:3]
	s_cbranch_vccnz .LBB0_4404
; %bb.4405:                             ;   in Loop: Header=BB0_2003 Depth=1
	s_add_co_i32 s10, s8, 0x4b1
	s_mov_b32 s11, s9
	s_delay_alu instid0(SALU_CYCLE_1)
	v_mov_b64_e32 v[2:3], s[10:11]
	s_wait_xcnt 0x0
	global_store_b64 v0, v[2:3], s[6:7] scope:SCOPE_SYS
.LBB0_4406:                             ;   Parent Loop BB0_2003 Depth=1
                                        ; =>  This Inner Loop Header: Depth=2
	global_load_b64 v[2:3], v0, s[4:5] scope:SCOPE_SYS
	s_wait_loadcnt 0x0
	v_cmp_ne_u64_e32 vcc_lo, s[10:11], v[2:3]
	s_cbranch_vccnz .LBB0_4406
; %bb.4407:                             ;   in Loop: Header=BB0_2003 Depth=1
	s_add_co_i32 s10, s8, 0x4b2
	s_mov_b32 s11, s9
	s_delay_alu instid0(SALU_CYCLE_1)
	v_mov_b64_e32 v[2:3], s[10:11]
	s_wait_xcnt 0x0
	global_store_b64 v0, v[2:3], s[6:7] scope:SCOPE_SYS
.LBB0_4408:                             ;   Parent Loop BB0_2003 Depth=1
                                        ; =>  This Inner Loop Header: Depth=2
	global_load_b64 v[2:3], v0, s[4:5] scope:SCOPE_SYS
	s_wait_loadcnt 0x0
	v_cmp_ne_u64_e32 vcc_lo, s[10:11], v[2:3]
	s_cbranch_vccnz .LBB0_4408
; %bb.4409:                             ;   in Loop: Header=BB0_2003 Depth=1
	s_add_co_i32 s10, s8, 0x4b3
	s_mov_b32 s11, s9
	s_delay_alu instid0(SALU_CYCLE_1)
	v_mov_b64_e32 v[2:3], s[10:11]
	s_wait_xcnt 0x0
	global_store_b64 v0, v[2:3], s[6:7] scope:SCOPE_SYS
.LBB0_4410:                             ;   Parent Loop BB0_2003 Depth=1
                                        ; =>  This Inner Loop Header: Depth=2
	global_load_b64 v[2:3], v0, s[4:5] scope:SCOPE_SYS
	s_wait_loadcnt 0x0
	v_cmp_ne_u64_e32 vcc_lo, s[10:11], v[2:3]
	s_cbranch_vccnz .LBB0_4410
; %bb.4411:                             ;   in Loop: Header=BB0_2003 Depth=1
	s_add_co_i32 s10, s8, 0x4b4
	s_mov_b32 s11, s9
	s_delay_alu instid0(SALU_CYCLE_1)
	v_mov_b64_e32 v[2:3], s[10:11]
	s_wait_xcnt 0x0
	global_store_b64 v0, v[2:3], s[6:7] scope:SCOPE_SYS
.LBB0_4412:                             ;   Parent Loop BB0_2003 Depth=1
                                        ; =>  This Inner Loop Header: Depth=2
	global_load_b64 v[2:3], v0, s[4:5] scope:SCOPE_SYS
	s_wait_loadcnt 0x0
	v_cmp_ne_u64_e32 vcc_lo, s[10:11], v[2:3]
	s_cbranch_vccnz .LBB0_4412
; %bb.4413:                             ;   in Loop: Header=BB0_2003 Depth=1
	s_add_co_i32 s10, s8, 0x4b5
	s_mov_b32 s11, s9
	s_delay_alu instid0(SALU_CYCLE_1)
	v_mov_b64_e32 v[2:3], s[10:11]
	s_wait_xcnt 0x0
	global_store_b64 v0, v[2:3], s[6:7] scope:SCOPE_SYS
.LBB0_4414:                             ;   Parent Loop BB0_2003 Depth=1
                                        ; =>  This Inner Loop Header: Depth=2
	global_load_b64 v[2:3], v0, s[4:5] scope:SCOPE_SYS
	s_wait_loadcnt 0x0
	v_cmp_ne_u64_e32 vcc_lo, s[10:11], v[2:3]
	s_cbranch_vccnz .LBB0_4414
; %bb.4415:                             ;   in Loop: Header=BB0_2003 Depth=1
	s_add_co_i32 s10, s8, 0x4b6
	s_mov_b32 s11, s9
	s_delay_alu instid0(SALU_CYCLE_1)
	v_mov_b64_e32 v[2:3], s[10:11]
	s_wait_xcnt 0x0
	global_store_b64 v0, v[2:3], s[6:7] scope:SCOPE_SYS
.LBB0_4416:                             ;   Parent Loop BB0_2003 Depth=1
                                        ; =>  This Inner Loop Header: Depth=2
	global_load_b64 v[2:3], v0, s[4:5] scope:SCOPE_SYS
	s_wait_loadcnt 0x0
	v_cmp_ne_u64_e32 vcc_lo, s[10:11], v[2:3]
	s_cbranch_vccnz .LBB0_4416
; %bb.4417:                             ;   in Loop: Header=BB0_2003 Depth=1
	s_add_co_i32 s10, s8, 0x4b7
	s_mov_b32 s11, s9
	s_delay_alu instid0(SALU_CYCLE_1)
	v_mov_b64_e32 v[2:3], s[10:11]
	s_wait_xcnt 0x0
	global_store_b64 v0, v[2:3], s[6:7] scope:SCOPE_SYS
.LBB0_4418:                             ;   Parent Loop BB0_2003 Depth=1
                                        ; =>  This Inner Loop Header: Depth=2
	global_load_b64 v[2:3], v0, s[4:5] scope:SCOPE_SYS
	s_wait_loadcnt 0x0
	v_cmp_ne_u64_e32 vcc_lo, s[10:11], v[2:3]
	s_cbranch_vccnz .LBB0_4418
; %bb.4419:                             ;   in Loop: Header=BB0_2003 Depth=1
	s_add_co_i32 s10, s8, 0x4b8
	s_mov_b32 s11, s9
	s_delay_alu instid0(SALU_CYCLE_1)
	v_mov_b64_e32 v[2:3], s[10:11]
	s_wait_xcnt 0x0
	global_store_b64 v0, v[2:3], s[6:7] scope:SCOPE_SYS
.LBB0_4420:                             ;   Parent Loop BB0_2003 Depth=1
                                        ; =>  This Inner Loop Header: Depth=2
	global_load_b64 v[2:3], v0, s[4:5] scope:SCOPE_SYS
	s_wait_loadcnt 0x0
	v_cmp_ne_u64_e32 vcc_lo, s[10:11], v[2:3]
	s_cbranch_vccnz .LBB0_4420
; %bb.4421:                             ;   in Loop: Header=BB0_2003 Depth=1
	s_add_co_i32 s10, s8, 0x4b9
	s_mov_b32 s11, s9
	s_delay_alu instid0(SALU_CYCLE_1)
	v_mov_b64_e32 v[2:3], s[10:11]
	s_wait_xcnt 0x0
	global_store_b64 v0, v[2:3], s[6:7] scope:SCOPE_SYS
.LBB0_4422:                             ;   Parent Loop BB0_2003 Depth=1
                                        ; =>  This Inner Loop Header: Depth=2
	global_load_b64 v[2:3], v0, s[4:5] scope:SCOPE_SYS
	s_wait_loadcnt 0x0
	v_cmp_ne_u64_e32 vcc_lo, s[10:11], v[2:3]
	s_cbranch_vccnz .LBB0_4422
; %bb.4423:                             ;   in Loop: Header=BB0_2003 Depth=1
	s_add_co_i32 s10, s8, 0x4ba
	s_mov_b32 s11, s9
	s_delay_alu instid0(SALU_CYCLE_1)
	v_mov_b64_e32 v[2:3], s[10:11]
	s_wait_xcnt 0x0
	global_store_b64 v0, v[2:3], s[6:7] scope:SCOPE_SYS
.LBB0_4424:                             ;   Parent Loop BB0_2003 Depth=1
                                        ; =>  This Inner Loop Header: Depth=2
	global_load_b64 v[2:3], v0, s[4:5] scope:SCOPE_SYS
	s_wait_loadcnt 0x0
	v_cmp_ne_u64_e32 vcc_lo, s[10:11], v[2:3]
	s_cbranch_vccnz .LBB0_4424
; %bb.4425:                             ;   in Loop: Header=BB0_2003 Depth=1
	s_add_co_i32 s10, s8, 0x4bb
	s_mov_b32 s11, s9
	s_delay_alu instid0(SALU_CYCLE_1)
	v_mov_b64_e32 v[2:3], s[10:11]
	s_wait_xcnt 0x0
	global_store_b64 v0, v[2:3], s[6:7] scope:SCOPE_SYS
.LBB0_4426:                             ;   Parent Loop BB0_2003 Depth=1
                                        ; =>  This Inner Loop Header: Depth=2
	global_load_b64 v[2:3], v0, s[4:5] scope:SCOPE_SYS
	s_wait_loadcnt 0x0
	v_cmp_ne_u64_e32 vcc_lo, s[10:11], v[2:3]
	s_cbranch_vccnz .LBB0_4426
; %bb.4427:                             ;   in Loop: Header=BB0_2003 Depth=1
	s_add_co_i32 s10, s8, 0x4bc
	s_mov_b32 s11, s9
	s_delay_alu instid0(SALU_CYCLE_1)
	v_mov_b64_e32 v[2:3], s[10:11]
	s_wait_xcnt 0x0
	global_store_b64 v0, v[2:3], s[6:7] scope:SCOPE_SYS
.LBB0_4428:                             ;   Parent Loop BB0_2003 Depth=1
                                        ; =>  This Inner Loop Header: Depth=2
	global_load_b64 v[2:3], v0, s[4:5] scope:SCOPE_SYS
	s_wait_loadcnt 0x0
	v_cmp_ne_u64_e32 vcc_lo, s[10:11], v[2:3]
	s_cbranch_vccnz .LBB0_4428
; %bb.4429:                             ;   in Loop: Header=BB0_2003 Depth=1
	s_add_co_i32 s10, s8, 0x4bd
	s_mov_b32 s11, s9
	s_delay_alu instid0(SALU_CYCLE_1)
	v_mov_b64_e32 v[2:3], s[10:11]
	s_wait_xcnt 0x0
	global_store_b64 v0, v[2:3], s[6:7] scope:SCOPE_SYS
.LBB0_4430:                             ;   Parent Loop BB0_2003 Depth=1
                                        ; =>  This Inner Loop Header: Depth=2
	global_load_b64 v[2:3], v0, s[4:5] scope:SCOPE_SYS
	s_wait_loadcnt 0x0
	v_cmp_ne_u64_e32 vcc_lo, s[10:11], v[2:3]
	s_cbranch_vccnz .LBB0_4430
; %bb.4431:                             ;   in Loop: Header=BB0_2003 Depth=1
	s_add_co_i32 s10, s8, 0x4be
	s_mov_b32 s11, s9
	s_delay_alu instid0(SALU_CYCLE_1)
	v_mov_b64_e32 v[2:3], s[10:11]
	s_wait_xcnt 0x0
	global_store_b64 v0, v[2:3], s[6:7] scope:SCOPE_SYS
.LBB0_4432:                             ;   Parent Loop BB0_2003 Depth=1
                                        ; =>  This Inner Loop Header: Depth=2
	global_load_b64 v[2:3], v0, s[4:5] scope:SCOPE_SYS
	s_wait_loadcnt 0x0
	v_cmp_ne_u64_e32 vcc_lo, s[10:11], v[2:3]
	s_cbranch_vccnz .LBB0_4432
; %bb.4433:                             ;   in Loop: Header=BB0_2003 Depth=1
	s_add_co_i32 s10, s8, 0x4bf
	s_mov_b32 s11, s9
	s_delay_alu instid0(SALU_CYCLE_1)
	v_mov_b64_e32 v[2:3], s[10:11]
	s_wait_xcnt 0x0
	global_store_b64 v0, v[2:3], s[6:7] scope:SCOPE_SYS
.LBB0_4434:                             ;   Parent Loop BB0_2003 Depth=1
                                        ; =>  This Inner Loop Header: Depth=2
	global_load_b64 v[2:3], v0, s[4:5] scope:SCOPE_SYS
	s_wait_loadcnt 0x0
	v_cmp_ne_u64_e32 vcc_lo, s[10:11], v[2:3]
	s_cbranch_vccnz .LBB0_4434
; %bb.4435:                             ;   in Loop: Header=BB0_2003 Depth=1
	s_add_co_i32 s10, s8, 0x4c0
	s_mov_b32 s11, s9
	s_delay_alu instid0(SALU_CYCLE_1)
	v_mov_b64_e32 v[2:3], s[10:11]
	s_wait_xcnt 0x0
	global_store_b64 v0, v[2:3], s[6:7] scope:SCOPE_SYS
.LBB0_4436:                             ;   Parent Loop BB0_2003 Depth=1
                                        ; =>  This Inner Loop Header: Depth=2
	global_load_b64 v[2:3], v0, s[4:5] scope:SCOPE_SYS
	s_wait_loadcnt 0x0
	v_cmp_ne_u64_e32 vcc_lo, s[10:11], v[2:3]
	s_cbranch_vccnz .LBB0_4436
; %bb.4437:                             ;   in Loop: Header=BB0_2003 Depth=1
	s_add_co_i32 s10, s8, 0x4c1
	s_mov_b32 s11, s9
	s_delay_alu instid0(SALU_CYCLE_1)
	v_mov_b64_e32 v[2:3], s[10:11]
	s_wait_xcnt 0x0
	global_store_b64 v0, v[2:3], s[6:7] scope:SCOPE_SYS
.LBB0_4438:                             ;   Parent Loop BB0_2003 Depth=1
                                        ; =>  This Inner Loop Header: Depth=2
	global_load_b64 v[2:3], v0, s[4:5] scope:SCOPE_SYS
	s_wait_loadcnt 0x0
	v_cmp_ne_u64_e32 vcc_lo, s[10:11], v[2:3]
	s_cbranch_vccnz .LBB0_4438
; %bb.4439:                             ;   in Loop: Header=BB0_2003 Depth=1
	s_add_co_i32 s10, s8, 0x4c2
	s_mov_b32 s11, s9
	s_delay_alu instid0(SALU_CYCLE_1)
	v_mov_b64_e32 v[2:3], s[10:11]
	s_wait_xcnt 0x0
	global_store_b64 v0, v[2:3], s[6:7] scope:SCOPE_SYS
.LBB0_4440:                             ;   Parent Loop BB0_2003 Depth=1
                                        ; =>  This Inner Loop Header: Depth=2
	global_load_b64 v[2:3], v0, s[4:5] scope:SCOPE_SYS
	s_wait_loadcnt 0x0
	v_cmp_ne_u64_e32 vcc_lo, s[10:11], v[2:3]
	s_cbranch_vccnz .LBB0_4440
; %bb.4441:                             ;   in Loop: Header=BB0_2003 Depth=1
	s_add_co_i32 s10, s8, 0x4c3
	s_mov_b32 s11, s9
	s_delay_alu instid0(SALU_CYCLE_1)
	v_mov_b64_e32 v[2:3], s[10:11]
	s_wait_xcnt 0x0
	global_store_b64 v0, v[2:3], s[6:7] scope:SCOPE_SYS
.LBB0_4442:                             ;   Parent Loop BB0_2003 Depth=1
                                        ; =>  This Inner Loop Header: Depth=2
	global_load_b64 v[2:3], v0, s[4:5] scope:SCOPE_SYS
	s_wait_loadcnt 0x0
	v_cmp_ne_u64_e32 vcc_lo, s[10:11], v[2:3]
	s_cbranch_vccnz .LBB0_4442
; %bb.4443:                             ;   in Loop: Header=BB0_2003 Depth=1
	s_add_co_i32 s10, s8, 0x4c4
	s_mov_b32 s11, s9
	s_delay_alu instid0(SALU_CYCLE_1)
	v_mov_b64_e32 v[2:3], s[10:11]
	s_wait_xcnt 0x0
	global_store_b64 v0, v[2:3], s[6:7] scope:SCOPE_SYS
.LBB0_4444:                             ;   Parent Loop BB0_2003 Depth=1
                                        ; =>  This Inner Loop Header: Depth=2
	global_load_b64 v[2:3], v0, s[4:5] scope:SCOPE_SYS
	s_wait_loadcnt 0x0
	v_cmp_ne_u64_e32 vcc_lo, s[10:11], v[2:3]
	s_cbranch_vccnz .LBB0_4444
; %bb.4445:                             ;   in Loop: Header=BB0_2003 Depth=1
	s_add_co_i32 s10, s8, 0x4c5
	s_mov_b32 s11, s9
	s_delay_alu instid0(SALU_CYCLE_1)
	v_mov_b64_e32 v[2:3], s[10:11]
	s_wait_xcnt 0x0
	global_store_b64 v0, v[2:3], s[6:7] scope:SCOPE_SYS
.LBB0_4446:                             ;   Parent Loop BB0_2003 Depth=1
                                        ; =>  This Inner Loop Header: Depth=2
	global_load_b64 v[2:3], v0, s[4:5] scope:SCOPE_SYS
	s_wait_loadcnt 0x0
	v_cmp_ne_u64_e32 vcc_lo, s[10:11], v[2:3]
	s_cbranch_vccnz .LBB0_4446
; %bb.4447:                             ;   in Loop: Header=BB0_2003 Depth=1
	s_add_co_i32 s10, s8, 0x4c6
	s_mov_b32 s11, s9
	s_delay_alu instid0(SALU_CYCLE_1)
	v_mov_b64_e32 v[2:3], s[10:11]
	s_wait_xcnt 0x0
	global_store_b64 v0, v[2:3], s[6:7] scope:SCOPE_SYS
.LBB0_4448:                             ;   Parent Loop BB0_2003 Depth=1
                                        ; =>  This Inner Loop Header: Depth=2
	global_load_b64 v[2:3], v0, s[4:5] scope:SCOPE_SYS
	s_wait_loadcnt 0x0
	v_cmp_ne_u64_e32 vcc_lo, s[10:11], v[2:3]
	s_cbranch_vccnz .LBB0_4448
; %bb.4449:                             ;   in Loop: Header=BB0_2003 Depth=1
	s_add_co_i32 s10, s8, 0x4c7
	s_mov_b32 s11, s9
	s_delay_alu instid0(SALU_CYCLE_1)
	v_mov_b64_e32 v[2:3], s[10:11]
	s_wait_xcnt 0x0
	global_store_b64 v0, v[2:3], s[6:7] scope:SCOPE_SYS
.LBB0_4450:                             ;   Parent Loop BB0_2003 Depth=1
                                        ; =>  This Inner Loop Header: Depth=2
	global_load_b64 v[2:3], v0, s[4:5] scope:SCOPE_SYS
	s_wait_loadcnt 0x0
	v_cmp_ne_u64_e32 vcc_lo, s[10:11], v[2:3]
	s_cbranch_vccnz .LBB0_4450
; %bb.4451:                             ;   in Loop: Header=BB0_2003 Depth=1
	s_add_co_i32 s10, s8, 0x4c8
	s_mov_b32 s11, s9
	s_delay_alu instid0(SALU_CYCLE_1)
	v_mov_b64_e32 v[2:3], s[10:11]
	s_wait_xcnt 0x0
	global_store_b64 v0, v[2:3], s[6:7] scope:SCOPE_SYS
.LBB0_4452:                             ;   Parent Loop BB0_2003 Depth=1
                                        ; =>  This Inner Loop Header: Depth=2
	global_load_b64 v[2:3], v0, s[4:5] scope:SCOPE_SYS
	s_wait_loadcnt 0x0
	v_cmp_ne_u64_e32 vcc_lo, s[10:11], v[2:3]
	s_cbranch_vccnz .LBB0_4452
; %bb.4453:                             ;   in Loop: Header=BB0_2003 Depth=1
	s_add_co_i32 s10, s8, 0x4c9
	s_mov_b32 s11, s9
	s_delay_alu instid0(SALU_CYCLE_1)
	v_mov_b64_e32 v[2:3], s[10:11]
	s_wait_xcnt 0x0
	global_store_b64 v0, v[2:3], s[6:7] scope:SCOPE_SYS
.LBB0_4454:                             ;   Parent Loop BB0_2003 Depth=1
                                        ; =>  This Inner Loop Header: Depth=2
	global_load_b64 v[2:3], v0, s[4:5] scope:SCOPE_SYS
	s_wait_loadcnt 0x0
	v_cmp_ne_u64_e32 vcc_lo, s[10:11], v[2:3]
	s_cbranch_vccnz .LBB0_4454
; %bb.4455:                             ;   in Loop: Header=BB0_2003 Depth=1
	s_add_co_i32 s10, s8, 0x4ca
	s_mov_b32 s11, s9
	s_delay_alu instid0(SALU_CYCLE_1)
	v_mov_b64_e32 v[2:3], s[10:11]
	s_wait_xcnt 0x0
	global_store_b64 v0, v[2:3], s[6:7] scope:SCOPE_SYS
.LBB0_4456:                             ;   Parent Loop BB0_2003 Depth=1
                                        ; =>  This Inner Loop Header: Depth=2
	global_load_b64 v[2:3], v0, s[4:5] scope:SCOPE_SYS
	s_wait_loadcnt 0x0
	v_cmp_ne_u64_e32 vcc_lo, s[10:11], v[2:3]
	s_cbranch_vccnz .LBB0_4456
; %bb.4457:                             ;   in Loop: Header=BB0_2003 Depth=1
	s_add_co_i32 s10, s8, 0x4cb
	s_mov_b32 s11, s9
	s_delay_alu instid0(SALU_CYCLE_1)
	v_mov_b64_e32 v[2:3], s[10:11]
	s_wait_xcnt 0x0
	global_store_b64 v0, v[2:3], s[6:7] scope:SCOPE_SYS
.LBB0_4458:                             ;   Parent Loop BB0_2003 Depth=1
                                        ; =>  This Inner Loop Header: Depth=2
	global_load_b64 v[2:3], v0, s[4:5] scope:SCOPE_SYS
	s_wait_loadcnt 0x0
	v_cmp_ne_u64_e32 vcc_lo, s[10:11], v[2:3]
	s_cbranch_vccnz .LBB0_4458
; %bb.4459:                             ;   in Loop: Header=BB0_2003 Depth=1
	s_add_co_i32 s10, s8, 0x4cc
	s_mov_b32 s11, s9
	s_delay_alu instid0(SALU_CYCLE_1)
	v_mov_b64_e32 v[2:3], s[10:11]
	s_wait_xcnt 0x0
	global_store_b64 v0, v[2:3], s[6:7] scope:SCOPE_SYS
.LBB0_4460:                             ;   Parent Loop BB0_2003 Depth=1
                                        ; =>  This Inner Loop Header: Depth=2
	global_load_b64 v[2:3], v0, s[4:5] scope:SCOPE_SYS
	s_wait_loadcnt 0x0
	v_cmp_ne_u64_e32 vcc_lo, s[10:11], v[2:3]
	s_cbranch_vccnz .LBB0_4460
; %bb.4461:                             ;   in Loop: Header=BB0_2003 Depth=1
	s_add_co_i32 s10, s8, 0x4cd
	s_mov_b32 s11, s9
	s_delay_alu instid0(SALU_CYCLE_1)
	v_mov_b64_e32 v[2:3], s[10:11]
	s_wait_xcnt 0x0
	global_store_b64 v0, v[2:3], s[6:7] scope:SCOPE_SYS
.LBB0_4462:                             ;   Parent Loop BB0_2003 Depth=1
                                        ; =>  This Inner Loop Header: Depth=2
	global_load_b64 v[2:3], v0, s[4:5] scope:SCOPE_SYS
	s_wait_loadcnt 0x0
	v_cmp_ne_u64_e32 vcc_lo, s[10:11], v[2:3]
	s_cbranch_vccnz .LBB0_4462
; %bb.4463:                             ;   in Loop: Header=BB0_2003 Depth=1
	s_add_co_i32 s10, s8, 0x4ce
	s_mov_b32 s11, s9
	s_delay_alu instid0(SALU_CYCLE_1)
	v_mov_b64_e32 v[2:3], s[10:11]
	s_wait_xcnt 0x0
	global_store_b64 v0, v[2:3], s[6:7] scope:SCOPE_SYS
.LBB0_4464:                             ;   Parent Loop BB0_2003 Depth=1
                                        ; =>  This Inner Loop Header: Depth=2
	global_load_b64 v[2:3], v0, s[4:5] scope:SCOPE_SYS
	s_wait_loadcnt 0x0
	v_cmp_ne_u64_e32 vcc_lo, s[10:11], v[2:3]
	s_cbranch_vccnz .LBB0_4464
; %bb.4465:                             ;   in Loop: Header=BB0_2003 Depth=1
	s_add_co_i32 s10, s8, 0x4cf
	s_mov_b32 s11, s9
	s_delay_alu instid0(SALU_CYCLE_1)
	v_mov_b64_e32 v[2:3], s[10:11]
	s_wait_xcnt 0x0
	global_store_b64 v0, v[2:3], s[6:7] scope:SCOPE_SYS
.LBB0_4466:                             ;   Parent Loop BB0_2003 Depth=1
                                        ; =>  This Inner Loop Header: Depth=2
	global_load_b64 v[2:3], v0, s[4:5] scope:SCOPE_SYS
	s_wait_loadcnt 0x0
	v_cmp_ne_u64_e32 vcc_lo, s[10:11], v[2:3]
	s_cbranch_vccnz .LBB0_4466
; %bb.4467:                             ;   in Loop: Header=BB0_2003 Depth=1
	s_add_co_i32 s10, s8, 0x4d0
	s_mov_b32 s11, s9
	s_delay_alu instid0(SALU_CYCLE_1)
	v_mov_b64_e32 v[2:3], s[10:11]
	s_wait_xcnt 0x0
	global_store_b64 v0, v[2:3], s[6:7] scope:SCOPE_SYS
.LBB0_4468:                             ;   Parent Loop BB0_2003 Depth=1
                                        ; =>  This Inner Loop Header: Depth=2
	global_load_b64 v[2:3], v0, s[4:5] scope:SCOPE_SYS
	s_wait_loadcnt 0x0
	v_cmp_ne_u64_e32 vcc_lo, s[10:11], v[2:3]
	s_cbranch_vccnz .LBB0_4468
; %bb.4469:                             ;   in Loop: Header=BB0_2003 Depth=1
	s_add_co_i32 s10, s8, 0x4d1
	s_mov_b32 s11, s9
	s_delay_alu instid0(SALU_CYCLE_1)
	v_mov_b64_e32 v[2:3], s[10:11]
	s_wait_xcnt 0x0
	global_store_b64 v0, v[2:3], s[6:7] scope:SCOPE_SYS
.LBB0_4470:                             ;   Parent Loop BB0_2003 Depth=1
                                        ; =>  This Inner Loop Header: Depth=2
	global_load_b64 v[2:3], v0, s[4:5] scope:SCOPE_SYS
	s_wait_loadcnt 0x0
	v_cmp_ne_u64_e32 vcc_lo, s[10:11], v[2:3]
	s_cbranch_vccnz .LBB0_4470
; %bb.4471:                             ;   in Loop: Header=BB0_2003 Depth=1
	s_add_co_i32 s10, s8, 0x4d2
	s_mov_b32 s11, s9
	s_delay_alu instid0(SALU_CYCLE_1)
	v_mov_b64_e32 v[2:3], s[10:11]
	s_wait_xcnt 0x0
	global_store_b64 v0, v[2:3], s[6:7] scope:SCOPE_SYS
.LBB0_4472:                             ;   Parent Loop BB0_2003 Depth=1
                                        ; =>  This Inner Loop Header: Depth=2
	global_load_b64 v[2:3], v0, s[4:5] scope:SCOPE_SYS
	s_wait_loadcnt 0x0
	v_cmp_ne_u64_e32 vcc_lo, s[10:11], v[2:3]
	s_cbranch_vccnz .LBB0_4472
; %bb.4473:                             ;   in Loop: Header=BB0_2003 Depth=1
	s_add_co_i32 s10, s8, 0x4d3
	s_mov_b32 s11, s9
	s_delay_alu instid0(SALU_CYCLE_1)
	v_mov_b64_e32 v[2:3], s[10:11]
	s_wait_xcnt 0x0
	global_store_b64 v0, v[2:3], s[6:7] scope:SCOPE_SYS
.LBB0_4474:                             ;   Parent Loop BB0_2003 Depth=1
                                        ; =>  This Inner Loop Header: Depth=2
	global_load_b64 v[2:3], v0, s[4:5] scope:SCOPE_SYS
	s_wait_loadcnt 0x0
	v_cmp_ne_u64_e32 vcc_lo, s[10:11], v[2:3]
	s_cbranch_vccnz .LBB0_4474
; %bb.4475:                             ;   in Loop: Header=BB0_2003 Depth=1
	s_add_co_i32 s10, s8, 0x4d4
	s_mov_b32 s11, s9
	s_delay_alu instid0(SALU_CYCLE_1)
	v_mov_b64_e32 v[2:3], s[10:11]
	s_wait_xcnt 0x0
	global_store_b64 v0, v[2:3], s[6:7] scope:SCOPE_SYS
.LBB0_4476:                             ;   Parent Loop BB0_2003 Depth=1
                                        ; =>  This Inner Loop Header: Depth=2
	global_load_b64 v[2:3], v0, s[4:5] scope:SCOPE_SYS
	s_wait_loadcnt 0x0
	v_cmp_ne_u64_e32 vcc_lo, s[10:11], v[2:3]
	s_cbranch_vccnz .LBB0_4476
; %bb.4477:                             ;   in Loop: Header=BB0_2003 Depth=1
	s_add_co_i32 s10, s8, 0x4d5
	s_mov_b32 s11, s9
	s_delay_alu instid0(SALU_CYCLE_1)
	v_mov_b64_e32 v[2:3], s[10:11]
	s_wait_xcnt 0x0
	global_store_b64 v0, v[2:3], s[6:7] scope:SCOPE_SYS
.LBB0_4478:                             ;   Parent Loop BB0_2003 Depth=1
                                        ; =>  This Inner Loop Header: Depth=2
	global_load_b64 v[2:3], v0, s[4:5] scope:SCOPE_SYS
	s_wait_loadcnt 0x0
	v_cmp_ne_u64_e32 vcc_lo, s[10:11], v[2:3]
	s_cbranch_vccnz .LBB0_4478
; %bb.4479:                             ;   in Loop: Header=BB0_2003 Depth=1
	s_add_co_i32 s10, s8, 0x4d6
	s_mov_b32 s11, s9
	s_delay_alu instid0(SALU_CYCLE_1)
	v_mov_b64_e32 v[2:3], s[10:11]
	s_wait_xcnt 0x0
	global_store_b64 v0, v[2:3], s[6:7] scope:SCOPE_SYS
.LBB0_4480:                             ;   Parent Loop BB0_2003 Depth=1
                                        ; =>  This Inner Loop Header: Depth=2
	global_load_b64 v[2:3], v0, s[4:5] scope:SCOPE_SYS
	s_wait_loadcnt 0x0
	v_cmp_ne_u64_e32 vcc_lo, s[10:11], v[2:3]
	s_cbranch_vccnz .LBB0_4480
; %bb.4481:                             ;   in Loop: Header=BB0_2003 Depth=1
	s_add_co_i32 s10, s8, 0x4d7
	s_mov_b32 s11, s9
	s_delay_alu instid0(SALU_CYCLE_1)
	v_mov_b64_e32 v[2:3], s[10:11]
	s_wait_xcnt 0x0
	global_store_b64 v0, v[2:3], s[6:7] scope:SCOPE_SYS
.LBB0_4482:                             ;   Parent Loop BB0_2003 Depth=1
                                        ; =>  This Inner Loop Header: Depth=2
	global_load_b64 v[2:3], v0, s[4:5] scope:SCOPE_SYS
	s_wait_loadcnt 0x0
	v_cmp_ne_u64_e32 vcc_lo, s[10:11], v[2:3]
	s_cbranch_vccnz .LBB0_4482
; %bb.4483:                             ;   in Loop: Header=BB0_2003 Depth=1
	s_add_co_i32 s10, s8, 0x4d8
	s_mov_b32 s11, s9
	s_delay_alu instid0(SALU_CYCLE_1)
	v_mov_b64_e32 v[2:3], s[10:11]
	s_wait_xcnt 0x0
	global_store_b64 v0, v[2:3], s[6:7] scope:SCOPE_SYS
.LBB0_4484:                             ;   Parent Loop BB0_2003 Depth=1
                                        ; =>  This Inner Loop Header: Depth=2
	global_load_b64 v[2:3], v0, s[4:5] scope:SCOPE_SYS
	s_wait_loadcnt 0x0
	v_cmp_ne_u64_e32 vcc_lo, s[10:11], v[2:3]
	s_cbranch_vccnz .LBB0_4484
; %bb.4485:                             ;   in Loop: Header=BB0_2003 Depth=1
	s_add_co_i32 s10, s8, 0x4d9
	s_mov_b32 s11, s9
	s_delay_alu instid0(SALU_CYCLE_1)
	v_mov_b64_e32 v[2:3], s[10:11]
	s_wait_xcnt 0x0
	global_store_b64 v0, v[2:3], s[6:7] scope:SCOPE_SYS
.LBB0_4486:                             ;   Parent Loop BB0_2003 Depth=1
                                        ; =>  This Inner Loop Header: Depth=2
	global_load_b64 v[2:3], v0, s[4:5] scope:SCOPE_SYS
	s_wait_loadcnt 0x0
	v_cmp_ne_u64_e32 vcc_lo, s[10:11], v[2:3]
	s_cbranch_vccnz .LBB0_4486
; %bb.4487:                             ;   in Loop: Header=BB0_2003 Depth=1
	s_add_co_i32 s10, s8, 0x4da
	s_mov_b32 s11, s9
	s_delay_alu instid0(SALU_CYCLE_1)
	v_mov_b64_e32 v[2:3], s[10:11]
	s_wait_xcnt 0x0
	global_store_b64 v0, v[2:3], s[6:7] scope:SCOPE_SYS
.LBB0_4488:                             ;   Parent Loop BB0_2003 Depth=1
                                        ; =>  This Inner Loop Header: Depth=2
	global_load_b64 v[2:3], v0, s[4:5] scope:SCOPE_SYS
	s_wait_loadcnt 0x0
	v_cmp_ne_u64_e32 vcc_lo, s[10:11], v[2:3]
	s_cbranch_vccnz .LBB0_4488
; %bb.4489:                             ;   in Loop: Header=BB0_2003 Depth=1
	s_add_co_i32 s10, s8, 0x4db
	s_mov_b32 s11, s9
	s_delay_alu instid0(SALU_CYCLE_1)
	v_mov_b64_e32 v[2:3], s[10:11]
	s_wait_xcnt 0x0
	global_store_b64 v0, v[2:3], s[6:7] scope:SCOPE_SYS
.LBB0_4490:                             ;   Parent Loop BB0_2003 Depth=1
                                        ; =>  This Inner Loop Header: Depth=2
	global_load_b64 v[2:3], v0, s[4:5] scope:SCOPE_SYS
	s_wait_loadcnt 0x0
	v_cmp_ne_u64_e32 vcc_lo, s[10:11], v[2:3]
	s_cbranch_vccnz .LBB0_4490
; %bb.4491:                             ;   in Loop: Header=BB0_2003 Depth=1
	s_add_co_i32 s10, s8, 0x4dc
	s_mov_b32 s11, s9
	s_delay_alu instid0(SALU_CYCLE_1)
	v_mov_b64_e32 v[2:3], s[10:11]
	s_wait_xcnt 0x0
	global_store_b64 v0, v[2:3], s[6:7] scope:SCOPE_SYS
.LBB0_4492:                             ;   Parent Loop BB0_2003 Depth=1
                                        ; =>  This Inner Loop Header: Depth=2
	global_load_b64 v[2:3], v0, s[4:5] scope:SCOPE_SYS
	s_wait_loadcnt 0x0
	v_cmp_ne_u64_e32 vcc_lo, s[10:11], v[2:3]
	s_cbranch_vccnz .LBB0_4492
; %bb.4493:                             ;   in Loop: Header=BB0_2003 Depth=1
	s_add_co_i32 s10, s8, 0x4dd
	s_mov_b32 s11, s9
	s_delay_alu instid0(SALU_CYCLE_1)
	v_mov_b64_e32 v[2:3], s[10:11]
	s_wait_xcnt 0x0
	global_store_b64 v0, v[2:3], s[6:7] scope:SCOPE_SYS
.LBB0_4494:                             ;   Parent Loop BB0_2003 Depth=1
                                        ; =>  This Inner Loop Header: Depth=2
	global_load_b64 v[2:3], v0, s[4:5] scope:SCOPE_SYS
	s_wait_loadcnt 0x0
	v_cmp_ne_u64_e32 vcc_lo, s[10:11], v[2:3]
	s_cbranch_vccnz .LBB0_4494
; %bb.4495:                             ;   in Loop: Header=BB0_2003 Depth=1
	s_add_co_i32 s10, s8, 0x4de
	s_mov_b32 s11, s9
	s_delay_alu instid0(SALU_CYCLE_1)
	v_mov_b64_e32 v[2:3], s[10:11]
	s_wait_xcnt 0x0
	global_store_b64 v0, v[2:3], s[6:7] scope:SCOPE_SYS
.LBB0_4496:                             ;   Parent Loop BB0_2003 Depth=1
                                        ; =>  This Inner Loop Header: Depth=2
	global_load_b64 v[2:3], v0, s[4:5] scope:SCOPE_SYS
	s_wait_loadcnt 0x0
	v_cmp_ne_u64_e32 vcc_lo, s[10:11], v[2:3]
	s_cbranch_vccnz .LBB0_4496
; %bb.4497:                             ;   in Loop: Header=BB0_2003 Depth=1
	s_add_co_i32 s10, s8, 0x4df
	s_mov_b32 s11, s9
	s_delay_alu instid0(SALU_CYCLE_1)
	v_mov_b64_e32 v[2:3], s[10:11]
	s_wait_xcnt 0x0
	global_store_b64 v0, v[2:3], s[6:7] scope:SCOPE_SYS
.LBB0_4498:                             ;   Parent Loop BB0_2003 Depth=1
                                        ; =>  This Inner Loop Header: Depth=2
	global_load_b64 v[2:3], v0, s[4:5] scope:SCOPE_SYS
	s_wait_loadcnt 0x0
	v_cmp_ne_u64_e32 vcc_lo, s[10:11], v[2:3]
	s_cbranch_vccnz .LBB0_4498
; %bb.4499:                             ;   in Loop: Header=BB0_2003 Depth=1
	s_add_co_i32 s10, s8, 0x4e0
	s_mov_b32 s11, s9
	s_delay_alu instid0(SALU_CYCLE_1)
	v_mov_b64_e32 v[2:3], s[10:11]
	s_wait_xcnt 0x0
	global_store_b64 v0, v[2:3], s[6:7] scope:SCOPE_SYS
.LBB0_4500:                             ;   Parent Loop BB0_2003 Depth=1
                                        ; =>  This Inner Loop Header: Depth=2
	global_load_b64 v[2:3], v0, s[4:5] scope:SCOPE_SYS
	s_wait_loadcnt 0x0
	v_cmp_ne_u64_e32 vcc_lo, s[10:11], v[2:3]
	s_cbranch_vccnz .LBB0_4500
; %bb.4501:                             ;   in Loop: Header=BB0_2003 Depth=1
	s_add_co_i32 s10, s8, 0x4e1
	s_mov_b32 s11, s9
	s_delay_alu instid0(SALU_CYCLE_1)
	v_mov_b64_e32 v[2:3], s[10:11]
	s_wait_xcnt 0x0
	global_store_b64 v0, v[2:3], s[6:7] scope:SCOPE_SYS
.LBB0_4502:                             ;   Parent Loop BB0_2003 Depth=1
                                        ; =>  This Inner Loop Header: Depth=2
	global_load_b64 v[2:3], v0, s[4:5] scope:SCOPE_SYS
	s_wait_loadcnt 0x0
	v_cmp_ne_u64_e32 vcc_lo, s[10:11], v[2:3]
	s_cbranch_vccnz .LBB0_4502
; %bb.4503:                             ;   in Loop: Header=BB0_2003 Depth=1
	s_addk_co_i32 s8, 0x4e2
	s_delay_alu instid0(SALU_CYCLE_1)
	s_cmp_eq_u32 s8, 0x2ee1
	s_cbranch_scc0 .LBB0_2003
; %bb.4504:
	s_wait_xcnt 0x0
	s_sendmsg_rtn_b64 s[4:5], sendmsg(MSG_RTN_GET_REALTIME)
	v_mov_b32_e32 v2, 0
	s_wait_kmcnt 0x0
	s_sub_nc_u64 s[0:1], s[4:5], s[0:1]
	s_delay_alu instid0(SALU_CYCLE_1)
	v_mov_b64_e32 v[0:1], s[0:1]
	global_store_b64 v2, v[0:1], s[2:3]
	s_endpgm
	.section	.rodata,"a",@progbits
	.p2align	6, 0x0
	.amdhsa_kernel _Z10PingKernelPmS_S_
		.amdhsa_group_segment_fixed_size 0
		.amdhsa_private_segment_fixed_size 0
		.amdhsa_kernarg_size 24
		.amdhsa_user_sgpr_count 2
		.amdhsa_user_sgpr_dispatch_ptr 0
		.amdhsa_user_sgpr_queue_ptr 0
		.amdhsa_user_sgpr_kernarg_segment_ptr 1
		.amdhsa_user_sgpr_dispatch_id 0
		.amdhsa_user_sgpr_kernarg_preload_length 0
		.amdhsa_user_sgpr_kernarg_preload_offset 0
		.amdhsa_user_sgpr_private_segment_size 0
		.amdhsa_wavefront_size32 1
		.amdhsa_uses_dynamic_stack 0
		.amdhsa_enable_private_segment 0
		.amdhsa_system_sgpr_workgroup_id_x 1
		.amdhsa_system_sgpr_workgroup_id_y 0
		.amdhsa_system_sgpr_workgroup_id_z 0
		.amdhsa_system_sgpr_workgroup_info 0
		.amdhsa_system_vgpr_workitem_id 0
		.amdhsa_next_free_vgpr 4
		.amdhsa_next_free_sgpr 12
		.amdhsa_named_barrier_count 0
		.amdhsa_reserve_vcc 1
		.amdhsa_float_round_mode_32 0
		.amdhsa_float_round_mode_16_64 0
		.amdhsa_float_denorm_mode_32 3
		.amdhsa_float_denorm_mode_16_64 3
		.amdhsa_fp16_overflow 0
		.amdhsa_memory_ordered 1
		.amdhsa_forward_progress 1
		.amdhsa_inst_pref_size 255
		.amdhsa_round_robin_scheduling 0
		.amdhsa_exception_fp_ieee_invalid_op 0
		.amdhsa_exception_fp_denorm_src 0
		.amdhsa_exception_fp_ieee_div_zero 0
		.amdhsa_exception_fp_ieee_overflow 0
		.amdhsa_exception_fp_ieee_underflow 0
		.amdhsa_exception_fp_ieee_inexact 0
		.amdhsa_exception_int_div_zero 0
	.end_amdhsa_kernel
	.text
.Lfunc_end0:
	.size	_Z10PingKernelPmS_S_, .Lfunc_end0-_Z10PingKernelPmS_S_
                                        ; -- End function
	.set _Z10PingKernelPmS_S_.num_vgpr, 4
	.set _Z10PingKernelPmS_S_.num_agpr, 0
	.set _Z10PingKernelPmS_S_.numbered_sgpr, 12
	.set _Z10PingKernelPmS_S_.num_named_barrier, 0
	.set _Z10PingKernelPmS_S_.private_seg_size, 0
	.set _Z10PingKernelPmS_S_.uses_vcc, 1
	.set _Z10PingKernelPmS_S_.uses_flat_scratch, 0
	.set _Z10PingKernelPmS_S_.has_dyn_sized_stack, 0
	.set _Z10PingKernelPmS_S_.has_recursion, 0
	.set _Z10PingKernelPmS_S_.has_indirect_call, 0
	.section	.AMDGPU.csdata,"",@progbits
; Kernel info:
; codeLenInByte = 134600
; TotalNumSgprs: 14
; NumVgprs: 4
; ScratchSize: 0
; MemoryBound: 1
; FloatMode: 240
; IeeeMode: 1
; LDSByteSize: 0 bytes/workgroup (compile time only)
; SGPRBlocks: 0
; VGPRBlocks: 0
; NumSGPRsForWavesPerEU: 14
; NumVGPRsForWavesPerEU: 4
; NamedBarCnt: 0
; Occupancy: 16
; WaveLimiterHint : 0
; COMPUTE_PGM_RSRC2:SCRATCH_EN: 0
; COMPUTE_PGM_RSRC2:USER_SGPR: 2
; COMPUTE_PGM_RSRC2:TRAP_HANDLER: 0
; COMPUTE_PGM_RSRC2:TGID_X_EN: 1
; COMPUTE_PGM_RSRC2:TGID_Y_EN: 0
; COMPUTE_PGM_RSRC2:TGID_Z_EN: 0
; COMPUTE_PGM_RSRC2:TIDIG_COMP_CNT: 0
	.text
	.protected	_Z10PongKernelPmS_S_    ; -- Begin function _Z10PongKernelPmS_S_
	.globl	_Z10PongKernelPmS_S_
	.p2align	8
	.type	_Z10PongKernelPmS_S_,@function
_Z10PongKernelPmS_S_:                   ; @_Z10PongKernelPmS_S_
; %bb.0:
	s_clause 0x1
	s_load_b128 s[4:7], s[0:1], 0x0
	s_load_b64 s[2:3], s[0:1], 0x10
	v_mov_b32_e32 v0, 0
	s_wait_xcnt 0x0
	s_mov_b32 s0, 1
	s_mov_b32 s1, 0
.LBB1_1:                                ; =>This Loop Header: Depth=1
                                        ;     Child Loop BB1_3 Depth 2
                                        ;     Child Loop BB1_5 Depth 2
	;; [unrolled: 1-line block ×999, first 2 shown]
	s_wait_kmcnt 0x0
	global_load_b64 v[2:3], v0, s[4:5] scope:SCOPE_SYS
	s_wait_loadcnt 0x0
	v_cmp_ne_u64_e32 vcc_lo, s[0:1], v[2:3]
	s_cbranch_vccnz .LBB1_1
; %bb.2:                                ;   in Loop: Header=BB1_1 Depth=1
	v_mov_b64_e32 v[2:3], s[0:1]
	s_add_co_i32 s8, s0, 1
	s_mov_b32 s9, s1
	global_store_b64 v0, v[2:3], s[6:7] scope:SCOPE_SYS
.LBB1_3:                                ;   Parent Loop BB1_1 Depth=1
                                        ; =>  This Inner Loop Header: Depth=2
	global_load_b64 v[2:3], v0, s[4:5] scope:SCOPE_SYS
	s_wait_loadcnt 0x0
	v_cmp_ne_u64_e32 vcc_lo, s[8:9], v[2:3]
	s_cbranch_vccnz .LBB1_3
; %bb.4:                                ;   in Loop: Header=BB1_1 Depth=1
	v_mov_b64_e32 v[2:3], s[8:9]
	s_add_co_i32 s8, s0, 2
	s_mov_b32 s9, s1
	s_wait_xcnt 0x0
	global_store_b64 v0, v[2:3], s[6:7] scope:SCOPE_SYS
.LBB1_5:                                ;   Parent Loop BB1_1 Depth=1
                                        ; =>  This Inner Loop Header: Depth=2
	global_load_b64 v[2:3], v0, s[4:5] scope:SCOPE_SYS
	s_wait_loadcnt 0x0
	v_cmp_ne_u64_e32 vcc_lo, s[8:9], v[2:3]
	s_cbranch_vccnz .LBB1_5
; %bb.6:                                ;   in Loop: Header=BB1_1 Depth=1
	v_mov_b64_e32 v[2:3], s[8:9]
	s_add_co_i32 s8, s0, 3
	s_mov_b32 s9, s1
	s_wait_xcnt 0x0
	;; [unrolled: 12-line block ×3, first 2 shown]
	global_store_b64 v0, v[2:3], s[6:7] scope:SCOPE_SYS
.LBB1_9:                                ;   Parent Loop BB1_1 Depth=1
                                        ; =>  This Inner Loop Header: Depth=2
	global_load_b64 v[2:3], v0, s[4:5] scope:SCOPE_SYS
	s_wait_loadcnt 0x0
	v_cmp_ne_u64_e32 vcc_lo, s[8:9], v[2:3]
	s_cbranch_vccnz .LBB1_9
; %bb.10:                               ;   in Loop: Header=BB1_1 Depth=1
	v_mov_b64_e32 v[2:3], s[8:9]
	s_add_co_i32 s8, s0, 5
	s_mov_b32 s9, s1
	s_wait_xcnt 0x0
	global_store_b64 v0, v[2:3], s[6:7] scope:SCOPE_SYS
.LBB1_11:                               ;   Parent Loop BB1_1 Depth=1
                                        ; =>  This Inner Loop Header: Depth=2
	global_load_b64 v[2:3], v0, s[4:5] scope:SCOPE_SYS
	s_wait_loadcnt 0x0
	v_cmp_ne_u64_e32 vcc_lo, s[8:9], v[2:3]
	s_cbranch_vccnz .LBB1_11
; %bb.12:                               ;   in Loop: Header=BB1_1 Depth=1
	v_mov_b64_e32 v[2:3], s[8:9]
	s_add_co_i32 s8, s0, 6
	s_mov_b32 s9, s1
	s_wait_xcnt 0x0
	global_store_b64 v0, v[2:3], s[6:7] scope:SCOPE_SYS
.LBB1_13:                               ;   Parent Loop BB1_1 Depth=1
                                        ; =>  This Inner Loop Header: Depth=2
	global_load_b64 v[2:3], v0, s[4:5] scope:SCOPE_SYS
	s_wait_loadcnt 0x0
	v_cmp_ne_u64_e32 vcc_lo, s[8:9], v[2:3]
	s_cbranch_vccnz .LBB1_13
	;; [unrolled: 12-line block ×45, first 2 shown]
; %bb.100:                              ;   in Loop: Header=BB1_1 Depth=1
	v_mov_b64_e32 v[2:3], s[8:9]
	s_add_co_i32 s8, s0, 50
	s_mov_b32 s9, s1
	s_wait_xcnt 0x0
	global_store_b64 v0, v[2:3], s[6:7] scope:SCOPE_SYS
.LBB1_101:                              ;   Parent Loop BB1_1 Depth=1
                                        ; =>  This Inner Loop Header: Depth=2
	global_load_b64 v[2:3], v0, s[4:5] scope:SCOPE_SYS
	s_wait_loadcnt 0x0
	v_cmp_ne_u64_e32 vcc_lo, s[8:9], v[2:3]
	s_cbranch_vccnz .LBB1_101
; %bb.102:                              ;   in Loop: Header=BB1_1 Depth=1
	v_mov_b64_e32 v[2:3], s[8:9]
	s_add_co_i32 s8, s0, 51
	s_mov_b32 s9, s1
	s_wait_xcnt 0x0
	global_store_b64 v0, v[2:3], s[6:7] scope:SCOPE_SYS
.LBB1_103:                              ;   Parent Loop BB1_1 Depth=1
                                        ; =>  This Inner Loop Header: Depth=2
	global_load_b64 v[2:3], v0, s[4:5] scope:SCOPE_SYS
	s_wait_loadcnt 0x0
	v_cmp_ne_u64_e32 vcc_lo, s[8:9], v[2:3]
	s_cbranch_vccnz .LBB1_103
	;; [unrolled: 12-line block ×450, first 2 shown]
; %bb.1000:                             ;   in Loop: Header=BB1_1 Depth=1
	v_mov_b64_e32 v[2:3], s[8:9]
	s_add_co_i32 s8, s0, 0x1f4
	s_mov_b32 s9, s1
	s_wait_xcnt 0x0
	global_store_b64 v0, v[2:3], s[6:7] scope:SCOPE_SYS
.LBB1_1001:                             ;   Parent Loop BB1_1 Depth=1
                                        ; =>  This Inner Loop Header: Depth=2
	global_load_b64 v[2:3], v0, s[4:5] scope:SCOPE_SYS
	s_wait_loadcnt 0x0
	v_cmp_ne_u64_e32 vcc_lo, s[8:9], v[2:3]
	s_cbranch_vccnz .LBB1_1001
; %bb.1002:                             ;   in Loop: Header=BB1_1 Depth=1
	v_mov_b64_e32 v[2:3], s[8:9]
	s_add_co_i32 s8, s0, 0x1f5
	s_mov_b32 s9, s1
	s_wait_xcnt 0x0
	global_store_b64 v0, v[2:3], s[6:7] scope:SCOPE_SYS
.LBB1_1003:                             ;   Parent Loop BB1_1 Depth=1
                                        ; =>  This Inner Loop Header: Depth=2
	global_load_b64 v[2:3], v0, s[4:5] scope:SCOPE_SYS
	s_wait_loadcnt 0x0
	v_cmp_ne_u64_e32 vcc_lo, s[8:9], v[2:3]
	s_cbranch_vccnz .LBB1_1003
	;; [unrolled: 12-line block ×500, first 2 shown]
; %bb.2000:                             ;   in Loop: Header=BB1_1 Depth=1
	v_mov_b64_e32 v[2:3], s[8:9]
	s_addk_co_i32 s0, 0x3e8
	s_delay_alu instid0(SALU_CYCLE_1)
	s_cmp_eq_u32 s0, 0x7d1
	s_wait_xcnt 0x0
	global_store_b64 v0, v[2:3], s[6:7] scope:SCOPE_SYS
	s_cbranch_scc0 .LBB1_1
; %bb.2001:
	s_wait_xcnt 0x0
	v_mov_b32_e32 v0, 0
	s_movk_i32 s8, 0x7d1
	s_sendmsg_rtn_b64 s[0:1], sendmsg(MSG_RTN_GET_REALTIME)
	s_mov_b32 s9, 0
.LBB1_2002:                             ; =>This Loop Header: Depth=1
                                        ;     Child Loop BB1_2004 Depth 2
                                        ;     Child Loop BB1_2006 Depth 2
	;; [unrolled: 1-line block ×1249, first 2 shown]
	global_load_b64 v[2:3], v0, s[4:5] scope:SCOPE_SYS
	s_wait_loadcnt 0x0
	v_cmp_ne_u64_e32 vcc_lo, s[8:9], v[2:3]
	s_cbranch_vccnz .LBB1_2002
; %bb.2003:                             ;   in Loop: Header=BB1_2002 Depth=1
	v_mov_b64_e32 v[2:3], s[8:9]
	s_add_co_i32 s10, s8, 1
	s_mov_b32 s11, s9
	s_wait_xcnt 0x0
	global_store_b64 v0, v[2:3], s[6:7] scope:SCOPE_SYS
.LBB1_2004:                             ;   Parent Loop BB1_2002 Depth=1
                                        ; =>  This Inner Loop Header: Depth=2
	global_load_b64 v[2:3], v0, s[4:5] scope:SCOPE_SYS
	s_wait_loadcnt 0x0
	v_cmp_ne_u64_e32 vcc_lo, s[10:11], v[2:3]
	s_cbranch_vccnz .LBB1_2004
; %bb.2005:                             ;   in Loop: Header=BB1_2002 Depth=1
	v_mov_b64_e32 v[2:3], s[10:11]
	s_add_co_i32 s10, s8, 2
	s_mov_b32 s11, s9
	s_wait_xcnt 0x0
	global_store_b64 v0, v[2:3], s[6:7] scope:SCOPE_SYS
.LBB1_2006:                             ;   Parent Loop BB1_2002 Depth=1
                                        ; =>  This Inner Loop Header: Depth=2
	global_load_b64 v[2:3], v0, s[4:5] scope:SCOPE_SYS
	s_wait_loadcnt 0x0
	v_cmp_ne_u64_e32 vcc_lo, s[10:11], v[2:3]
	s_cbranch_vccnz .LBB1_2006
	;; [unrolled: 12-line block ×1249, first 2 shown]
; %bb.4501:                             ;   in Loop: Header=BB1_2002 Depth=1
	v_mov_b64_e32 v[2:3], s[10:11]
	s_addk_co_i32 s8, 0x4e2
	s_delay_alu instid0(SALU_CYCLE_1)
	s_cmp_eq_u32 s8, 0x2ee1
	s_wait_xcnt 0x0
	global_store_b64 v0, v[2:3], s[6:7] scope:SCOPE_SYS
	s_cbranch_scc0 .LBB1_2002
; %bb.4502:
	s_sendmsg_rtn_b64 s[4:5], sendmsg(MSG_RTN_GET_REALTIME)
	s_wait_xcnt 0x0
	v_mov_b32_e32 v2, 0
	s_wait_kmcnt 0x0
	s_sub_nc_u64 s[0:1], s[4:5], s[0:1]
	s_delay_alu instid0(SALU_CYCLE_1)
	v_mov_b64_e32 v[0:1], s[0:1]
	global_store_b64 v2, v[0:1], s[2:3]
	s_endpgm
	.section	.rodata,"a",@progbits
	.p2align	6, 0x0
	.amdhsa_kernel _Z10PongKernelPmS_S_
		.amdhsa_group_segment_fixed_size 0
		.amdhsa_private_segment_fixed_size 0
		.amdhsa_kernarg_size 24
		.amdhsa_user_sgpr_count 2
		.amdhsa_user_sgpr_dispatch_ptr 0
		.amdhsa_user_sgpr_queue_ptr 0
		.amdhsa_user_sgpr_kernarg_segment_ptr 1
		.amdhsa_user_sgpr_dispatch_id 0
		.amdhsa_user_sgpr_kernarg_preload_length 0
		.amdhsa_user_sgpr_kernarg_preload_offset 0
		.amdhsa_user_sgpr_private_segment_size 0
		.amdhsa_wavefront_size32 1
		.amdhsa_uses_dynamic_stack 0
		.amdhsa_enable_private_segment 0
		.amdhsa_system_sgpr_workgroup_id_x 1
		.amdhsa_system_sgpr_workgroup_id_y 0
		.amdhsa_system_sgpr_workgroup_id_z 0
		.amdhsa_system_sgpr_workgroup_info 0
		.amdhsa_system_vgpr_workitem_id 0
		.amdhsa_next_free_vgpr 4
		.amdhsa_next_free_sgpr 12
		.amdhsa_named_barrier_count 0
		.amdhsa_reserve_vcc 1
		.amdhsa_float_round_mode_32 0
		.amdhsa_float_round_mode_16_64 0
		.amdhsa_float_denorm_mode_32 3
		.amdhsa_float_denorm_mode_16_64 3
		.amdhsa_fp16_overflow 0
		.amdhsa_memory_ordered 1
		.amdhsa_forward_progress 1
		.amdhsa_inst_pref_size 255
		.amdhsa_round_robin_scheduling 0
		.amdhsa_exception_fp_ieee_invalid_op 0
		.amdhsa_exception_fp_denorm_src 0
		.amdhsa_exception_fp_ieee_div_zero 0
		.amdhsa_exception_fp_ieee_overflow 0
		.amdhsa_exception_fp_ieee_underflow 0
		.amdhsa_exception_fp_ieee_inexact 0
		.amdhsa_exception_int_div_zero 0
	.end_amdhsa_kernel
	.text
.Lfunc_end1:
	.size	_Z10PongKernelPmS_S_, .Lfunc_end1-_Z10PongKernelPmS_S_
                                        ; -- End function
	.set _Z10PongKernelPmS_S_.num_vgpr, 4
	.set _Z10PongKernelPmS_S_.num_agpr, 0
	.set _Z10PongKernelPmS_S_.numbered_sgpr, 12
	.set _Z10PongKernelPmS_S_.num_named_barrier, 0
	.set _Z10PongKernelPmS_S_.private_seg_size, 0
	.set _Z10PongKernelPmS_S_.uses_vcc, 1
	.set _Z10PongKernelPmS_S_.uses_flat_scratch, 0
	.set _Z10PongKernelPmS_S_.has_dyn_sized_stack, 0
	.set _Z10PongKernelPmS_S_.has_recursion, 0
	.set _Z10PongKernelPmS_S_.has_indirect_call, 0
	.section	.AMDGPU.csdata,"",@progbits
; Kernel info:
; codeLenInByte = 125604
; TotalNumSgprs: 14
; NumVgprs: 4
; ScratchSize: 0
; MemoryBound: 1
; FloatMode: 240
; IeeeMode: 1
; LDSByteSize: 0 bytes/workgroup (compile time only)
; SGPRBlocks: 0
; VGPRBlocks: 0
; NumSGPRsForWavesPerEU: 14
; NumVGPRsForWavesPerEU: 4
; NamedBarCnt: 0
; Occupancy: 16
; WaveLimiterHint : 0
; COMPUTE_PGM_RSRC2:SCRATCH_EN: 0
; COMPUTE_PGM_RSRC2:USER_SGPR: 2
; COMPUTE_PGM_RSRC2:TRAP_HANDLER: 0
; COMPUTE_PGM_RSRC2:TGID_X_EN: 1
; COMPUTE_PGM_RSRC2:TGID_Y_EN: 0
; COMPUTE_PGM_RSRC2:TGID_Z_EN: 0
; COMPUTE_PGM_RSRC2:TIDIG_COMP_CNT: 0
	.text
	.p2alignl 7, 3214868480
	.fill 96, 4, 3214868480
	.section	.AMDGPU.gpr_maximums,"",@progbits
	.set amdgpu.max_num_vgpr, 0
	.set amdgpu.max_num_agpr, 0
	.set amdgpu.max_num_sgpr, 0
	.text
	.type	__hip_cuid_c7228a1d63a6a488,@object ; @__hip_cuid_c7228a1d63a6a488
	.section	.bss,"aw",@nobits
	.globl	__hip_cuid_c7228a1d63a6a488
__hip_cuid_c7228a1d63a6a488:
	.byte	0                               ; 0x0
	.size	__hip_cuid_c7228a1d63a6a488, 1

	.ident	"AMD clang version 22.0.0git (https://github.com/RadeonOpenCompute/llvm-project roc-7.2.4 26084 f58b06dce1f9c15707c5f808fd002e18c2accf7e)"
	.section	".note.GNU-stack","",@progbits
	.addrsig
	.addrsig_sym __hip_cuid_c7228a1d63a6a488
	.amdgpu_metadata
---
amdhsa.kernels:
  - .args:
      - .address_space:  global
        .offset:         0
        .size:           8
        .value_kind:     global_buffer
      - .address_space:  global
        .offset:         8
        .size:           8
        .value_kind:     global_buffer
      - .address_space:  global
        .offset:         16
        .size:           8
        .value_kind:     global_buffer
    .group_segment_fixed_size: 0
    .kernarg_segment_align: 8
    .kernarg_segment_size: 24
    .language:       OpenCL C
    .language_version:
      - 2
      - 0
    .max_flat_workgroup_size: 1024
    .name:           _Z10PingKernelPmS_S_
    .private_segment_fixed_size: 0
    .sgpr_count:     14
    .sgpr_spill_count: 0
    .symbol:         _Z10PingKernelPmS_S_.kd
    .uniform_work_group_size: 1
    .uses_dynamic_stack: false
    .vgpr_count:     4
    .vgpr_spill_count: 0
    .wavefront_size: 32
  - .args:
      - .address_space:  global
        .offset:         0
        .size:           8
        .value_kind:     global_buffer
      - .address_space:  global
        .offset:         8
        .size:           8
        .value_kind:     global_buffer
      - .address_space:  global
        .offset:         16
        .size:           8
        .value_kind:     global_buffer
    .group_segment_fixed_size: 0
    .kernarg_segment_align: 8
    .kernarg_segment_size: 24
    .language:       OpenCL C
    .language_version:
      - 2
      - 0
    .max_flat_workgroup_size: 1024
    .name:           _Z10PongKernelPmS_S_
    .private_segment_fixed_size: 0
    .sgpr_count:     14
    .sgpr_spill_count: 0
    .symbol:         _Z10PongKernelPmS_S_.kd
    .uniform_work_group_size: 1
    .uses_dynamic_stack: false
    .vgpr_count:     4
    .vgpr_spill_count: 0
    .wavefront_size: 32
amdhsa.target:   amdgcn-amd-amdhsa--gfx1250
amdhsa.version:
  - 1
  - 2
...

	.end_amdgpu_metadata
